;; amdgpu-corpus repo=ROCm/rocSOLVER kind=compiled arch=gfx950 opt=O3
	.amdgcn_target "amdgcn-amd-amdhsa--gfx950"
	.amdhsa_code_object_version 6
	.section	.text._ZN9rocsolver6v33100L6iota_nIfEEvPT_jS2_,"axG",@progbits,_ZN9rocsolver6v33100L6iota_nIfEEvPT_jS2_,comdat
	.globl	_ZN9rocsolver6v33100L6iota_nIfEEvPT_jS2_ ; -- Begin function _ZN9rocsolver6v33100L6iota_nIfEEvPT_jS2_
	.p2align	8
	.type	_ZN9rocsolver6v33100L6iota_nIfEEvPT_jS2_,@function
_ZN9rocsolver6v33100L6iota_nIfEEvPT_jS2_: ; @_ZN9rocsolver6v33100L6iota_nIfEEvPT_jS2_
; %bb.0:
	s_load_dwordx2 s[2:3], s[0:1], 0x8
	s_waitcnt lgkmcnt(0)
	v_cmp_gt_u32_e32 vcc, s2, v0
	s_and_saveexec_b64 s[4:5], vcc
	s_cbranch_execz .LBB0_2
; %bb.1:
	s_load_dwordx2 s[0:1], s[0:1], 0x0
	v_lshlrev_b32_e32 v1, 2, v0
	v_cvt_f32_ubyte0_e32 v0, v0
	v_add_f32_e32 v0, s3, v0
	s_waitcnt lgkmcnt(0)
	global_store_dword v1, v0, s[0:1]
.LBB0_2:
	s_endpgm
	.section	.rodata,"a",@progbits
	.p2align	6, 0x0
	.amdhsa_kernel _ZN9rocsolver6v33100L6iota_nIfEEvPT_jS2_
		.amdhsa_group_segment_fixed_size 0
		.amdhsa_private_segment_fixed_size 0
		.amdhsa_kernarg_size 16
		.amdhsa_user_sgpr_count 2
		.amdhsa_user_sgpr_dispatch_ptr 0
		.amdhsa_user_sgpr_queue_ptr 0
		.amdhsa_user_sgpr_kernarg_segment_ptr 1
		.amdhsa_user_sgpr_dispatch_id 0
		.amdhsa_user_sgpr_kernarg_preload_length 0
		.amdhsa_user_sgpr_kernarg_preload_offset 0
		.amdhsa_user_sgpr_private_segment_size 0
		.amdhsa_uses_dynamic_stack 0
		.amdhsa_enable_private_segment 0
		.amdhsa_system_sgpr_workgroup_id_x 1
		.amdhsa_system_sgpr_workgroup_id_y 0
		.amdhsa_system_sgpr_workgroup_id_z 0
		.amdhsa_system_sgpr_workgroup_info 0
		.amdhsa_system_vgpr_workitem_id 0
		.amdhsa_next_free_vgpr 2
		.amdhsa_next_free_sgpr 6
		.amdhsa_accum_offset 4
		.amdhsa_reserve_vcc 1
		.amdhsa_float_round_mode_32 0
		.amdhsa_float_round_mode_16_64 0
		.amdhsa_float_denorm_mode_32 3
		.amdhsa_float_denorm_mode_16_64 3
		.amdhsa_dx10_clamp 1
		.amdhsa_ieee_mode 1
		.amdhsa_fp16_overflow 0
		.amdhsa_tg_split 0
		.amdhsa_exception_fp_ieee_invalid_op 0
		.amdhsa_exception_fp_denorm_src 0
		.amdhsa_exception_fp_ieee_div_zero 0
		.amdhsa_exception_fp_ieee_overflow 0
		.amdhsa_exception_fp_ieee_underflow 0
		.amdhsa_exception_fp_ieee_inexact 0
		.amdhsa_exception_int_div_zero 0
	.end_amdhsa_kernel
	.section	.text._ZN9rocsolver6v33100L6iota_nIfEEvPT_jS2_,"axG",@progbits,_ZN9rocsolver6v33100L6iota_nIfEEvPT_jS2_,comdat
.Lfunc_end0:
	.size	_ZN9rocsolver6v33100L6iota_nIfEEvPT_jS2_, .Lfunc_end0-_ZN9rocsolver6v33100L6iota_nIfEEvPT_jS2_
                                        ; -- End function
	.set _ZN9rocsolver6v33100L6iota_nIfEEvPT_jS2_.num_vgpr, 2
	.set _ZN9rocsolver6v33100L6iota_nIfEEvPT_jS2_.num_agpr, 0
	.set _ZN9rocsolver6v33100L6iota_nIfEEvPT_jS2_.numbered_sgpr, 6
	.set _ZN9rocsolver6v33100L6iota_nIfEEvPT_jS2_.num_named_barrier, 0
	.set _ZN9rocsolver6v33100L6iota_nIfEEvPT_jS2_.private_seg_size, 0
	.set _ZN9rocsolver6v33100L6iota_nIfEEvPT_jS2_.uses_vcc, 1
	.set _ZN9rocsolver6v33100L6iota_nIfEEvPT_jS2_.uses_flat_scratch, 0
	.set _ZN9rocsolver6v33100L6iota_nIfEEvPT_jS2_.has_dyn_sized_stack, 0
	.set _ZN9rocsolver6v33100L6iota_nIfEEvPT_jS2_.has_recursion, 0
	.set _ZN9rocsolver6v33100L6iota_nIfEEvPT_jS2_.has_indirect_call, 0
	.section	.AMDGPU.csdata,"",@progbits
; Kernel info:
; codeLenInByte = 60
; TotalNumSgprs: 12
; NumVgprs: 2
; NumAgprs: 0
; TotalNumVgprs: 2
; ScratchSize: 0
; MemoryBound: 0
; FloatMode: 240
; IeeeMode: 1
; LDSByteSize: 0 bytes/workgroup (compile time only)
; SGPRBlocks: 1
; VGPRBlocks: 0
; NumSGPRsForWavesPerEU: 12
; NumVGPRsForWavesPerEU: 2
; AccumOffset: 4
; Occupancy: 8
; WaveLimiterHint : 0
; COMPUTE_PGM_RSRC2:SCRATCH_EN: 0
; COMPUTE_PGM_RSRC2:USER_SGPR: 2
; COMPUTE_PGM_RSRC2:TRAP_HANDLER: 0
; COMPUTE_PGM_RSRC2:TGID_X_EN: 1
; COMPUTE_PGM_RSRC2:TGID_Y_EN: 0
; COMPUTE_PGM_RSRC2:TGID_Z_EN: 0
; COMPUTE_PGM_RSRC2:TIDIG_COMP_CNT: 0
; COMPUTE_PGM_RSRC3_GFX90A:ACCUM_OFFSET: 0
; COMPUTE_PGM_RSRC3_GFX90A:TG_SPLIT: 0
	.section	.text._ZN9rocsolver6v33100L18geqr2_kernel_smallILi256EfifPKPfEEvT1_S5_T3_lS5_lPT2_lPT0_l,"axG",@progbits,_ZN9rocsolver6v33100L18geqr2_kernel_smallILi256EfifPKPfEEvT1_S5_T3_lS5_lPT2_lPT0_l,comdat
	.globl	_ZN9rocsolver6v33100L18geqr2_kernel_smallILi256EfifPKPfEEvT1_S5_T3_lS5_lPT2_lPT0_l ; -- Begin function _ZN9rocsolver6v33100L18geqr2_kernel_smallILi256EfifPKPfEEvT1_S5_T3_lS5_lPT2_lPT0_l
	.p2align	8
	.type	_ZN9rocsolver6v33100L18geqr2_kernel_smallILi256EfifPKPfEEvT1_S5_T3_lS5_lPT2_lPT0_l,@function
_ZN9rocsolver6v33100L18geqr2_kernel_smallILi256EfifPKPfEEvT1_S5_T3_lS5_lPT2_lPT0_l: ; @_ZN9rocsolver6v33100L18geqr2_kernel_smallILi256EfifPKPfEEvT1_S5_T3_lS5_lPT2_lPT0_l
; %bb.0:
	s_load_dwordx4 s[12:15], s[0:1], 0x8
	s_mov_b32 s4, s3
	s_ashr_i32 s5, s3, 31
	s_lshl_b64 s[2:3], s[4:5], 3
	v_and_b32_e32 v2, 0x7f, v0
	s_waitcnt lgkmcnt(0)
	s_add_u32 s2, s12, s2
	s_addc_u32 s3, s13, s3
	s_load_dwordx2 s[6:7], s[2:3], 0x0
	s_load_dwordx2 s[10:11], s[0:1], 0x0
	s_load_dword s26, s[0:1], 0x18
	s_lshl_b64 s[2:3], s[14:15], 2
	v_lshrrev_b32_e32 v3, 7, v0
	s_waitcnt lgkmcnt(0)
	s_add_u32 s20, s6, s2
	s_addc_u32 s21, s7, s3
	v_cmp_gt_i32_e64 s[8:9], s10, v2
	v_lshlrev_b32_e32 v8, 2, v2
	s_and_saveexec_b64 s[6:7], s[8:9]
	s_cbranch_execz .LBB1_6
; %bb.1:
	v_lshrrev_b32_e32 v1, 7, v0
	v_mul_lo_u32 v4, s10, v1
	v_lshlrev_b32_e32 v4, 2, v4
	v_add3_u32 v9, v4, v8, 0
	v_mad_u64_u32 v[4:5], s[2:3], s26, v1, v[2:3]
	v_cmp_gt_i32_e32 vcc, s11, v1
	s_lshl_b32 s18, s10, 3
	s_lshl_b32 s19, s26, 1
	s_mov_b64 s[12:13], 0
	v_mov_b32_e32 v5, v2
	s_branch .LBB1_3
.LBB1_2:                                ;   in Loop: Header=BB1_3 Depth=1
	s_or_b64 exec, exec, s[14:15]
	v_add_u32_e32 v5, 0x80, v5
	v_cmp_le_i32_e64 s[2:3], s10, v5
	v_add_u32_e32 v9, 0x200, v9
	s_or_b64 s[12:13], s[2:3], s[12:13]
	v_add_u32_e32 v4, 0x80, v4
	s_andn2_b64 exec, exec, s[12:13]
	s_cbranch_execz .LBB1_6
.LBB1_3:                                ; =>This Loop Header: Depth=1
                                        ;     Child Loop BB1_5 Depth 2
	s_and_saveexec_b64 s[14:15], vcc
	s_cbranch_execz .LBB1_2
; %bb.4:                                ;   in Loop: Header=BB1_3 Depth=1
	s_mov_b64 s[16:17], 0
	v_mov_b32_e32 v6, v4
	v_mov_b32_e32 v10, v9
	v_mov_b32_e32 v11, v1
.LBB1_5:                                ;   Parent Loop BB1_3 Depth=1
                                        ; =>  This Inner Loop Header: Depth=2
	v_ashrrev_i32_e32 v7, 31, v6
	v_lshl_add_u64 v[12:13], v[6:7], 2, s[20:21]
	flat_load_dword v7, v[12:13]
	v_add_u32_e32 v11, 2, v11
	v_cmp_le_i32_e64 s[2:3], s11, v11
	v_add_u32_e32 v6, s19, v6
	s_or_b64 s[16:17], s[2:3], s[16:17]
	s_waitcnt vmcnt(0) lgkmcnt(0)
	ds_write_b32 v10, v7
	v_add_u32_e32 v10, s18, v10
	s_andn2_b64 exec, exec, s[16:17]
	s_cbranch_execnz .LBB1_5
	s_branch .LBB1_2
.LBB1_6:
	s_or_b64 exec, exec, s[6:7]
	s_min_i32 s27, s11, s10
	s_cmp_lt_i32 s27, 1
	s_waitcnt lgkmcnt(0)
	s_barrier
	s_cbranch_scc1 .LBB1_43
; %bb.7:
	s_load_dwordx8 s[12:19], s[0:1], 0x28
	v_mbcnt_lo_u32_b32 v1, -1, 0
	v_mbcnt_hi_u32_b32 v9, -1, v1
	v_and_b32_e32 v7, 63, v9
	v_cmp_ne_u32_e32 vcc, 63, v7
	s_waitcnt lgkmcnt(0)
	s_mul_i32 s1, s14, s5
	s_mul_hi_u32 s2, s14, s4
	s_mul_i32 s3, s15, s4
	s_add_i32 s1, s2, s1
	s_mul_i32 s0, s14, s4
	s_add_i32 s1, s1, s3
	s_lshl_b64 s[0:1], s[0:1], 2
	s_mul_i32 s5, s18, s5
	s_add_u32 s28, s12, s0
	s_mul_hi_u32 s0, s18, s4
	s_addc_u32 s29, s13, s1
	s_add_i32 s0, s0, s5
	s_mul_i32 s1, s19, s4
	s_add_i32 s1, s0, s1
	s_mul_i32 s0, s18, s4
	s_lshl_b64 s[0:1], s[0:1], 2
	s_add_u32 s30, s16, s0
	s_mul_i32 s0, s11, s10
	s_addc_u32 s31, s17, s1
	s_lshl_b32 s0, s0, 2
	v_addc_co_u32_e32 v1, vcc, 0, v9, vcc
	s_add_i32 s33, s0, 0
	s_lshl_b32 s0, s11, 2
	v_cmp_gt_u32_e32 vcc, 62, v7
	s_add_i32 s34, s33, s0
	s_cmp_eq_u64 s[12:13], 0
	v_cndmask_b32_e64 v4, 0, 2, vcc
	v_cmp_gt_u32_e32 vcc, 60, v7
	s_cselect_b64 s[16:17], -1, 0
	s_cmp_lg_u64 s[12:13], 0
	v_cndmask_b32_e64 v5, 0, 4, vcc
	v_cmp_gt_u32_e32 vcc, 56, v7
	v_mov_b32_e32 v10, 0x80
	s_cselect_b64 s[12:13], -1, 0
	v_cndmask_b32_e64 v6, 0, 8, vcc
	v_cmp_gt_u32_e32 vcc, 48, v7
	s_lshl_b32 s35, s10, 2
	v_mul_lo_u32 v11, s10, v0
	v_cndmask_b32_e64 v7, 0, 16, vcc
	s_mov_b32 s15, 0
	v_add_lshl_u32 v4, v4, v9, 2
	v_add_lshl_u32 v5, v5, v9, 2
	v_add_lshl_u32 v6, v6, v9, 2
	v_add_lshl_u32 v7, v7, v9, 2
	v_lshl_or_b32 v9, v9, 2, v10
	v_and_b32_e32 v10, 63, v0
	v_lshrrev_b32_e32 v13, 4, v0
	v_lshlrev_b32_e32 v12, 2, v0
	v_add_u32_e32 v11, s10, v11
	s_add_i32 s0, s35, 0
	v_lshlrev_b32_e32 v1, 2, v1
	v_cmp_eq_u32_e64 s[2:3], 0, v10
	v_cmp_eq_u32_e64 s[4:5], 0, v0
	v_add3_u32 v10, v12, 0, 4
	s_add_i32 s36, s35, 4
	v_lshl_add_u32 v11, v11, 2, 0
	s_lshl_b32 s37, s10, 10
	v_add_u32_e32 v12, s0, v12
	v_add_u32_e32 v13, s34, v13
	v_mov_b32_e32 v14, 0
	s_mov_b32 s38, 0xf800000
	v_mov_b32_e32 v15, 0x260
	s_mov_b32 s39, 0
	s_mov_b32 s40, s11
	;; [unrolled: 1-line block ×4, first 2 shown]
	s_branch .LBB1_9
.LBB1_8:                                ;   in Loop: Header=BB1_9 Depth=1
	s_or_b64 exec, exec, s[0:1]
	s_add_i32 s40, s40, -1
	s_add_i32 s14, s14, 1
	s_add_i32 s41, s41, -1
	s_add_i32 s39, s39, s36
	v_add_u32_e32 v10, s36, v10
	v_add_u32_e32 v11, s36, v11
	s_cmp_eq_u32 s14, s27
	v_add_u32_e32 v12, s36, v12
	s_waitcnt lgkmcnt(0)
	s_barrier
	s_cbranch_scc1 .LBB1_43
.LBB1_9:                                ; =>This Loop Header: Depth=1
                                        ;     Child Loop BB1_11 Depth 2
                                        ;     Child Loop BB1_24 Depth 2
	;; [unrolled: 1-line block ×3, first 2 shown]
                                        ;       Child Loop BB1_30 Depth 3
                                        ;     Child Loop BB1_34 Depth 2
                                        ;       Child Loop BB1_36 Depth 3
	s_sub_i32 s42, s10, s14
	s_add_i32 s44, s42, -1
	v_cmp_gt_i32_e64 s[6:7], s44, v0
	v_mov_b32_e32 v16, 0
	s_and_saveexec_b64 s[0:1], s[6:7]
	s_cbranch_execz .LBB1_13
; %bb.10:                               ;   in Loop: Header=BB1_9 Depth=1
	v_mov_b32_e32 v16, 0
	s_mov_b64 s[18:19], 0
	v_mov_b32_e32 v17, v10
	v_mov_b32_e32 v18, v0
.LBB1_11:                               ;   Parent Loop BB1_9 Depth=1
                                        ; =>  This Inner Loop Header: Depth=2
	ds_read_b32 v19, v17
	v_add_u32_e32 v18, 0x100, v18
	v_cmp_le_i32_e32 vcc, s44, v18
	v_add_u32_e32 v17, 0x400, v17
	s_or_b64 s[18:19], vcc, s[18:19]
	s_waitcnt lgkmcnt(0)
	v_fmac_f32_e32 v16, v19, v19
	s_andn2_b64 exec, exec, s[18:19]
	s_cbranch_execnz .LBB1_11
; %bb.12:                               ;   in Loop: Header=BB1_9 Depth=1
	s_or_b64 exec, exec, s[18:19]
.LBB1_13:                               ;   in Loop: Header=BB1_9 Depth=1
	s_or_b64 exec, exec, s[0:1]
	ds_bpermute_b32 v17, v1, v16
	s_waitcnt lgkmcnt(0)
	v_add_f32_e32 v16, v16, v17
	ds_bpermute_b32 v17, v4, v16
	s_waitcnt lgkmcnt(0)
	v_add_f32_e32 v16, v16, v17
	;; [unrolled: 3-line block ×6, first 2 shown]
	s_and_saveexec_b64 s[0:1], s[2:3]
; %bb.14:                               ;   in Loop: Header=BB1_9 Depth=1
	ds_write_b32 v13, v16 offset:4
; %bb.15:                               ;   in Loop: Header=BB1_9 Depth=1
	s_or_b64 exec, exec, s[0:1]
	s_lshl_b32 s0, s14, 2
	s_add_i32 s43, s0, 0
	s_mul_i32 s0, s14, s10
	s_lshl_b32 s0, s0, 2
	s_add_i32 s43, s43, s0
	s_waitcnt lgkmcnt(0)
	s_barrier
	s_and_saveexec_b64 s[18:19], s[4:5]
	s_cbranch_execz .LBB1_22
; %bb.16:                               ;   in Loop: Header=BB1_9 Depth=1
	v_mov_b32_e32 v17, s34
	ds_read2_b32 v[18:19], v17 offset0:2 offset1:3
	ds_read_b32 v17, v17 offset:16
	s_mov_b64 s[0:1], 0
	s_mov_b64 s[22:23], 0
	s_waitcnt lgkmcnt(1)
	v_add_f32_e32 v16, v16, v18
	v_add_f32_e32 v16, v16, v19
	s_waitcnt lgkmcnt(0)
	v_add_f32_e32 v18, v16, v17
	v_cmp_nlt_f32_e32 vcc, 0, v18
                                        ; implicit-def: $vgpr16
	s_and_saveexec_b64 s[24:25], vcc
	s_xor_b64 s[24:25], exec, s[24:25]
	s_cbranch_execnz .LBB1_37
; %bb.17:                               ;   in Loop: Header=BB1_9 Depth=1
	s_or_saveexec_b64 s[24:25], s[24:25]
	v_mov_b32_e32 v17, 1.0
	s_xor_b64 exec, exec, s[24:25]
	s_cbranch_execnz .LBB1_41
.LBB1_18:                               ;   in Loop: Header=BB1_9 Depth=1
	s_or_b64 exec, exec, s[24:25]
	s_and_saveexec_b64 s[24:25], s[22:23]
	s_cbranch_execnz .LBB1_42
.LBB1_19:                               ;   in Loop: Header=BB1_9 Depth=1
	s_or_b64 exec, exec, s[24:25]
	v_mov_b32_e32 v18, 0
	s_and_saveexec_b64 s[22:23], s[0:1]
	s_cbranch_execz .LBB1_21
.LBB1_20:                               ;   in Loop: Header=BB1_9 Depth=1
	v_mov_b32_e32 v18, s43
	s_waitcnt lgkmcnt(0)
	ds_write_b32 v18, v16
	v_mov_b32_e32 v16, s34
	ds_read_b32 v18, v16
.LBB1_21:                               ;   in Loop: Header=BB1_9 Depth=1
	s_or_b64 exec, exec, s[22:23]
	s_lshl_b64 s[0:1], s[14:15], 2
	s_add_u32 s0, s30, s0
	s_addc_u32 s1, s31, s1
	s_waitcnt lgkmcnt(0)
	v_mov_b32_e32 v16, s34
	global_store_dword v14, v18, s[0:1]
	ds_write_b32 v16, v17 offset:4
.LBB1_22:                               ;   in Loop: Header=BB1_9 Depth=1
	s_or_b64 exec, exec, s[18:19]
	s_waitcnt lgkmcnt(0)
	s_barrier
	s_and_saveexec_b64 s[0:1], s[6:7]
	s_cbranch_execz .LBB1_25
; %bb.23:                               ;   in Loop: Header=BB1_9 Depth=1
	s_mov_b32 s18, 0
	s_mov_b64 s[6:7], 0
	v_mov_b32_e32 v16, v0
.LBB1_24:                               ;   Parent Loop BB1_9 Depth=1
                                        ; =>  This Inner Loop Header: Depth=2
	v_mov_b32_e32 v17, s34
	v_add_u32_e32 v18, s18, v10
	ds_read_b32 v17, v17 offset:4
	ds_read_b32 v19, v18
	v_add_u32_e32 v16, 0x100, v16
	s_addk_i32 s18, 0x400
	v_cmp_le_i32_e32 vcc, s44, v16
	s_or_b64 s[6:7], vcc, s[6:7]
	s_waitcnt lgkmcnt(0)
	v_mul_f32_e32 v17, v17, v19
	ds_write_b32 v18, v17
	s_andn2_b64 exec, exec, s[6:7]
	s_cbranch_execnz .LBB1_24
.LBB1_25:                               ;   in Loop: Header=BB1_9 Depth=1
	s_or_b64 exec, exec, s[0:1]
	s_not_b32 s0, s14
	s_add_i32 s22, s11, s0
	v_cmp_gt_i32_e32 vcc, s22, v0
	s_waitcnt lgkmcnt(0)
	s_barrier
	s_and_saveexec_b64 s[0:1], vcc
	s_cbranch_execz .LBB1_31
; %bb.26:                               ;   in Loop: Header=BB1_9 Depth=1
	s_cmp_gt_i32 s42, 0
	s_mov_b64 s[6:7], 0
	s_cselect_b64 s[18:19], -1, 0
	v_mov_b32_e32 v16, v11
	v_mov_b32_e32 v17, v0
	s_branch .LBB1_28
.LBB1_27:                               ;   in Loop: Header=BB1_28 Depth=2
	v_mov_b32_e32 v19, s34
	ds_read_b32 v19, v19
	v_lshl_add_u32 v20, v17, 2, s33
	v_add_u32_e32 v17, 0x100, v17
	v_cmp_le_i32_e32 vcc, s22, v17
	s_or_b64 s[6:7], vcc, s[6:7]
	s_waitcnt lgkmcnt(0)
	v_mul_f32_e32 v18, v18, v19
	v_add_u32_e32 v16, s37, v16
	ds_write_b32 v20, v18
	s_andn2_b64 exec, exec, s[6:7]
	s_cbranch_execz .LBB1_31
.LBB1_28:                               ;   Parent Loop BB1_9 Depth=1
                                        ; =>  This Loop Header: Depth=2
                                        ;       Child Loop BB1_30 Depth 3
	v_mov_b32_e32 v18, 0
	s_andn2_b64 vcc, exec, s[18:19]
	s_cbranch_vccnz .LBB1_27
; %bb.29:                               ;   in Loop: Header=BB1_28 Depth=2
	s_mov_b32 s23, s39
	s_mov_b32 s24, s41
	v_mov_b32_e32 v19, v16
.LBB1_30:                               ;   Parent Loop BB1_9 Depth=1
                                        ;     Parent Loop BB1_28 Depth=2
                                        ; =>    This Inner Loop Header: Depth=3
	v_mov_b32_e32 v21, s23
	ds_read_b32 v20, v19
	ds_read_b32 v21, v21
	s_add_i32 s24, s24, -1
	s_add_i32 s23, s23, 4
	v_add_u32_e32 v19, 4, v19
	s_cmp_eq_u32 s24, 0
	s_waitcnt lgkmcnt(0)
	v_fmac_f32_e32 v18, v20, v21
	s_cbranch_scc0 .LBB1_30
	s_branch .LBB1_27
.LBB1_31:                               ;   in Loop: Header=BB1_9 Depth=1
	s_or_b64 exec, exec, s[0:1]
	v_cmp_gt_i32_e32 vcc, s42, v0
	s_waitcnt lgkmcnt(0)
	s_barrier
	s_and_saveexec_b64 s[0:1], vcc
	s_cbranch_execz .LBB1_8
; %bb.32:                               ;   in Loop: Header=BB1_9 Depth=1
	s_cmp_gt_i32 s22, 0
	s_mov_b64 s[6:7], 0
	s_cselect_b64 s[18:19], -1, 0
	v_mov_b32_e32 v16, v12
	v_mov_b32_e32 v17, v0
	s_branch .LBB1_34
.LBB1_33:                               ;   in Loop: Header=BB1_34 Depth=2
	v_add_u32_e32 v17, 0x100, v17
	v_cmp_le_i32_e32 vcc, s42, v17
	s_or_b64 s[6:7], vcc, s[6:7]
	v_add_u32_e32 v16, 0x400, v16
	s_andn2_b64 exec, exec, s[6:7]
	s_cbranch_execz .LBB1_8
.LBB1_34:                               ;   Parent Loop BB1_9 Depth=1
                                        ; =>  This Loop Header: Depth=2
                                        ;       Child Loop BB1_36 Depth 3
	s_andn2_b64 vcc, exec, s[18:19]
	s_cbranch_vccnz .LBB1_33
; %bb.35:                               ;   in Loop: Header=BB1_34 Depth=2
	v_lshl_add_u32 v18, v17, 2, s43
	s_mov_b32 s22, 1
	s_mov_b32 s23, s33
	v_mov_b32_e32 v19, v16
.LBB1_36:                               ;   Parent Loop BB1_9 Depth=1
                                        ;     Parent Loop BB1_34 Depth=2
                                        ; =>    This Inner Loop Header: Depth=3
	v_mov_b32_e32 v22, s23
	ds_read_b32 v20, v19
	ds_read_b32 v21, v18
	;; [unrolled: 1-line block ×3, first 2 shown]
	s_add_i32 s22, s22, 1
	s_add_i32 s23, s23, 4
	s_cmp_eq_u32 s40, s22
	s_waitcnt lgkmcnt(0)
	v_fma_f32 v20, -v21, v22, v20
	ds_write_b32 v19, v20
	v_add_u32_e32 v19, s35, v19
	s_cbranch_scc0 .LBB1_36
	s_branch .LBB1_33
.LBB1_37:                               ;   in Loop: Header=BB1_9 Depth=1
	v_mov_b32_e32 v16, s34
	s_and_b64 vcc, exec, s[12:13]
	ds_write_b32 v16, v14
	s_cbranch_vccz .LBB1_39
; %bb.38:                               ;   in Loop: Header=BB1_9 Depth=1
	v_mov_b32_e32 v16, s43
	ds_read_b32 v16, v16
	s_mov_b64 s[22:23], -1
	s_branch .LBB1_40
.LBB1_39:                               ;   in Loop: Header=BB1_9 Depth=1
                                        ; implicit-def: $vgpr16
.LBB1_40:                               ;   in Loop: Header=BB1_9 Depth=1
	s_and_b64 s[22:23], s[22:23], exec
                                        ; implicit-def: $vgpr18
	s_or_saveexec_b64 s[24:25], s[24:25]
	v_mov_b32_e32 v17, 1.0
	s_xor_b64 exec, exec, s[24:25]
	s_cbranch_execz .LBB1_18
.LBB1_41:                               ;   in Loop: Header=BB1_9 Depth=1
	s_waitcnt lgkmcnt(0)
	v_mov_b32_e32 v16, s43
	ds_read_b32 v17, v16
	s_andn2_b64 s[22:23], s[22:23], exec
	s_and_b64 s[46:47], s[12:13], exec
	s_or_b64 s[22:23], s[22:23], s[46:47]
	s_waitcnt lgkmcnt(0)
	v_fmac_f32_e32 v18, v17, v17
	v_mul_f32_e32 v16, 0x4f800000, v18
	v_cmp_gt_f32_e32 vcc, s38, v18
	s_nop 1
	v_cndmask_b32_e32 v16, v18, v16, vcc
	v_sqrt_f32_e32 v18, v16
	s_nop 0
	v_add_u32_e32 v19, -1, v18
	v_add_u32_e32 v20, 1, v18
	v_fma_f32 v21, -v19, v18, v16
	v_fma_f32 v22, -v20, v18, v16
	v_cmp_ge_f32_e64 s[0:1], 0, v21
	s_nop 1
	v_cndmask_b32_e64 v18, v18, v19, s[0:1]
	v_cmp_lt_f32_e64 s[0:1], 0, v22
	s_nop 1
	v_cndmask_b32_e64 v18, v18, v20, s[0:1]
	v_mul_f32_e32 v19, 0x37800000, v18
	v_cndmask_b32_e32 v18, v18, v19, vcc
	v_cmp_class_f32_e32 vcc, v16, v15
	s_nop 1
	v_cndmask_b32_e32 v16, v18, v16, vcc
	v_cmp_le_f32_e32 vcc, 0, v17
	s_nop 1
	v_cndmask_b32_e64 v16, v16, -v16, vcc
	v_sub_f32_e32 v18, v17, v16
	v_div_scale_f32 v19, s[0:1], v18, v18, 1.0
	v_rcp_f32_e32 v20, v19
	v_div_scale_f32 v21, vcc, 1.0, v18, 1.0
	v_fma_f32 v22, -v19, v20, 1.0
	v_fmac_f32_e32 v20, v22, v20
	v_mul_f32_e32 v22, v21, v20
	v_fma_f32 v23, -v19, v22, v21
	v_fmac_f32_e32 v22, v23, v20
	v_fma_f32 v19, -v19, v22, v21
	v_sub_f32_e32 v21, v16, v17
	v_div_scale_f32 v23, s[0:1], v16, v16, v21
	v_rcp_f32_e32 v24, v23
	v_div_fmas_f32 v17, v19, v20, v22
	v_div_fixup_f32 v17, v17, v18, 1.0
	s_and_b64 s[0:1], s[16:17], exec
	v_fma_f32 v18, -v23, v24, 1.0
	v_fmac_f32_e32 v24, v18, v24
	v_div_scale_f32 v18, vcc, v21, v16, v21
	v_mul_f32_e32 v19, v18, v24
	v_fma_f32 v20, -v23, v19, v18
	v_fmac_f32_e32 v19, v20, v24
	v_fma_f32 v18, -v23, v19, v18
	v_div_fmas_f32 v18, v18, v24, v19
	v_div_fixup_f32 v18, v18, v16, v21
	v_mov_b32_e32 v19, s34
	ds_write_b32 v19, v18
	s_or_b64 exec, exec, s[24:25]
	s_and_saveexec_b64 s[24:25], s[22:23]
	s_cbranch_execz .LBB1_19
.LBB1_42:                               ;   in Loop: Header=BB1_9 Depth=1
	s_lshl_b64 s[22:23], s[14:15], 2
	s_add_u32 s22, s28, s22
	s_addc_u32 s23, s29, s23
	s_waitcnt lgkmcnt(0)
	global_store_dword v14, v16, s[22:23]
	v_mov_b32_e32 v16, 1.0
	s_or_b64 s[0:1], s[0:1], exec
	s_or_b64 exec, exec, s[24:25]
	v_mov_b32_e32 v18, 0
	s_and_saveexec_b64 s[22:23], s[0:1]
	s_cbranch_execnz .LBB1_20
	s_branch .LBB1_21
.LBB1_43:
	s_and_saveexec_b64 s[0:1], s[8:9]
	s_cbranch_execz .LBB1_49
; %bb.44:
	v_mad_u64_u32 v[0:1], s[0:1], s26, v3, v[2:3]
	v_mul_lo_u32 v1, s10, v3
	v_lshlrev_b32_e32 v1, 2, v1
	v_cmp_gt_i32_e32 vcc, s11, v3
	s_lshl_b32 s8, s26, 1
	v_add3_u32 v1, v1, v8, 0
	s_lshl_b32 s9, s10, 3
	s_mov_b64 s[2:3], 0
	s_branch .LBB1_46
.LBB1_45:                               ;   in Loop: Header=BB1_46 Depth=1
	s_or_b64 exec, exec, s[4:5]
	v_add_u32_e32 v2, 0x80, v2
	v_cmp_le_i32_e64 s[0:1], s10, v2
	v_add_u32_e32 v0, 0x80, v0
	s_or_b64 s[2:3], s[0:1], s[2:3]
	v_add_u32_e32 v1, 0x200, v1
	s_andn2_b64 exec, exec, s[2:3]
	s_cbranch_execz .LBB1_49
.LBB1_46:                               ; =>This Loop Header: Depth=1
                                        ;     Child Loop BB1_48 Depth 2
	s_and_saveexec_b64 s[4:5], vcc
	s_cbranch_execz .LBB1_45
; %bb.47:                               ;   in Loop: Header=BB1_46 Depth=1
	s_mov_b64 s[6:7], 0
	v_mov_b32_e32 v6, v1
	v_mov_b32_e32 v4, v0
	;; [unrolled: 1-line block ×3, first 2 shown]
.LBB1_48:                               ;   Parent Loop BB1_46 Depth=1
                                        ; =>  This Inner Loop Header: Depth=2
	ds_read_b32 v10, v6
	v_add_u32_e32 v7, 2, v7
	v_ashrrev_i32_e32 v5, 31, v4
	v_cmp_le_i32_e64 s[0:1], s11, v7
	v_add_u32_e32 v6, s9, v6
	v_lshl_add_u64 v[8:9], v[4:5], 2, s[20:21]
	v_add_u32_e32 v4, s8, v4
	s_or_b64 s[6:7], s[0:1], s[6:7]
	s_waitcnt lgkmcnt(0)
	flat_store_dword v[8:9], v10
	s_andn2_b64 exec, exec, s[6:7]
	s_cbranch_execnz .LBB1_48
	s_branch .LBB1_45
.LBB1_49:
	s_endpgm
	.section	.rodata,"a",@progbits
	.p2align	6, 0x0
	.amdhsa_kernel _ZN9rocsolver6v33100L18geqr2_kernel_smallILi256EfifPKPfEEvT1_S5_T3_lS5_lPT2_lPT0_l
		.amdhsa_group_segment_fixed_size 0
		.amdhsa_private_segment_fixed_size 0
		.amdhsa_kernarg_size 72
		.amdhsa_user_sgpr_count 2
		.amdhsa_user_sgpr_dispatch_ptr 0
		.amdhsa_user_sgpr_queue_ptr 0
		.amdhsa_user_sgpr_kernarg_segment_ptr 1
		.amdhsa_user_sgpr_dispatch_id 0
		.amdhsa_user_sgpr_kernarg_preload_length 0
		.amdhsa_user_sgpr_kernarg_preload_offset 0
		.amdhsa_user_sgpr_private_segment_size 0
		.amdhsa_uses_dynamic_stack 0
		.amdhsa_enable_private_segment 0
		.amdhsa_system_sgpr_workgroup_id_x 1
		.amdhsa_system_sgpr_workgroup_id_y 0
		.amdhsa_system_sgpr_workgroup_id_z 1
		.amdhsa_system_sgpr_workgroup_info 0
		.amdhsa_system_vgpr_workitem_id 0
		.amdhsa_next_free_vgpr 25
		.amdhsa_next_free_sgpr 48
		.amdhsa_accum_offset 28
		.amdhsa_reserve_vcc 1
		.amdhsa_float_round_mode_32 0
		.amdhsa_float_round_mode_16_64 0
		.amdhsa_float_denorm_mode_32 3
		.amdhsa_float_denorm_mode_16_64 3
		.amdhsa_dx10_clamp 1
		.amdhsa_ieee_mode 1
		.amdhsa_fp16_overflow 0
		.amdhsa_tg_split 0
		.amdhsa_exception_fp_ieee_invalid_op 0
		.amdhsa_exception_fp_denorm_src 0
		.amdhsa_exception_fp_ieee_div_zero 0
		.amdhsa_exception_fp_ieee_overflow 0
		.amdhsa_exception_fp_ieee_underflow 0
		.amdhsa_exception_fp_ieee_inexact 0
		.amdhsa_exception_int_div_zero 0
	.end_amdhsa_kernel
	.section	.text._ZN9rocsolver6v33100L18geqr2_kernel_smallILi256EfifPKPfEEvT1_S5_T3_lS5_lPT2_lPT0_l,"axG",@progbits,_ZN9rocsolver6v33100L18geqr2_kernel_smallILi256EfifPKPfEEvT1_S5_T3_lS5_lPT2_lPT0_l,comdat
.Lfunc_end1:
	.size	_ZN9rocsolver6v33100L18geqr2_kernel_smallILi256EfifPKPfEEvT1_S5_T3_lS5_lPT2_lPT0_l, .Lfunc_end1-_ZN9rocsolver6v33100L18geqr2_kernel_smallILi256EfifPKPfEEvT1_S5_T3_lS5_lPT2_lPT0_l
                                        ; -- End function
	.set _ZN9rocsolver6v33100L18geqr2_kernel_smallILi256EfifPKPfEEvT1_S5_T3_lS5_lPT2_lPT0_l.num_vgpr, 25
	.set _ZN9rocsolver6v33100L18geqr2_kernel_smallILi256EfifPKPfEEvT1_S5_T3_lS5_lPT2_lPT0_l.num_agpr, 0
	.set _ZN9rocsolver6v33100L18geqr2_kernel_smallILi256EfifPKPfEEvT1_S5_T3_lS5_lPT2_lPT0_l.numbered_sgpr, 48
	.set _ZN9rocsolver6v33100L18geqr2_kernel_smallILi256EfifPKPfEEvT1_S5_T3_lS5_lPT2_lPT0_l.num_named_barrier, 0
	.set _ZN9rocsolver6v33100L18geqr2_kernel_smallILi256EfifPKPfEEvT1_S5_T3_lS5_lPT2_lPT0_l.private_seg_size, 0
	.set _ZN9rocsolver6v33100L18geqr2_kernel_smallILi256EfifPKPfEEvT1_S5_T3_lS5_lPT2_lPT0_l.uses_vcc, 1
	.set _ZN9rocsolver6v33100L18geqr2_kernel_smallILi256EfifPKPfEEvT1_S5_T3_lS5_lPT2_lPT0_l.uses_flat_scratch, 0
	.set _ZN9rocsolver6v33100L18geqr2_kernel_smallILi256EfifPKPfEEvT1_S5_T3_lS5_lPT2_lPT0_l.has_dyn_sized_stack, 0
	.set _ZN9rocsolver6v33100L18geqr2_kernel_smallILi256EfifPKPfEEvT1_S5_T3_lS5_lPT2_lPT0_l.has_recursion, 0
	.set _ZN9rocsolver6v33100L18geqr2_kernel_smallILi256EfifPKPfEEvT1_S5_T3_lS5_lPT2_lPT0_l.has_indirect_call, 0
	.section	.AMDGPU.csdata,"",@progbits
; Kernel info:
; codeLenInByte = 2304
; TotalNumSgprs: 54
; NumVgprs: 25
; NumAgprs: 0
; TotalNumVgprs: 25
; ScratchSize: 0
; MemoryBound: 0
; FloatMode: 240
; IeeeMode: 1
; LDSByteSize: 0 bytes/workgroup (compile time only)
; SGPRBlocks: 6
; VGPRBlocks: 3
; NumSGPRsForWavesPerEU: 54
; NumVGPRsForWavesPerEU: 25
; AccumOffset: 28
; Occupancy: 8
; WaveLimiterHint : 1
; COMPUTE_PGM_RSRC2:SCRATCH_EN: 0
; COMPUTE_PGM_RSRC2:USER_SGPR: 2
; COMPUTE_PGM_RSRC2:TRAP_HANDLER: 0
; COMPUTE_PGM_RSRC2:TGID_X_EN: 1
; COMPUTE_PGM_RSRC2:TGID_Y_EN: 0
; COMPUTE_PGM_RSRC2:TGID_Z_EN: 1
; COMPUTE_PGM_RSRC2:TIDIG_COMP_CNT: 0
; COMPUTE_PGM_RSRC3_GFX90A:ACCUM_OFFSET: 6
; COMPUTE_PGM_RSRC3_GFX90A:TG_SPLIT: 0
	.section	.text._ZN9rocsolver6v33100L16reset_batch_infoIfiiPfEEvT2_lT0_T1_,"axG",@progbits,_ZN9rocsolver6v33100L16reset_batch_infoIfiiPfEEvT2_lT0_T1_,comdat
	.globl	_ZN9rocsolver6v33100L16reset_batch_infoIfiiPfEEvT2_lT0_T1_ ; -- Begin function _ZN9rocsolver6v33100L16reset_batch_infoIfiiPfEEvT2_lT0_T1_
	.p2align	8
	.type	_ZN9rocsolver6v33100L16reset_batch_infoIfiiPfEEvT2_lT0_T1_,@function
_ZN9rocsolver6v33100L16reset_batch_infoIfiiPfEEvT2_lT0_T1_: ; @_ZN9rocsolver6v33100L16reset_batch_infoIfiiPfEEvT2_lT0_T1_
; %bb.0:
	s_load_dword s6, s[0:1], 0x24
	s_load_dwordx2 s[4:5], s[0:1], 0x10
	s_waitcnt lgkmcnt(0)
	s_and_b32 s6, s6, 0xffff
	s_mul_i32 s2, s2, s6
	v_add_u32_e32 v0, s2, v0
	v_cmp_gt_i32_e32 vcc, s4, v0
	s_and_saveexec_b64 s[6:7], vcc
	s_cbranch_execz .LBB2_2
; %bb.1:
	s_load_dwordx4 s[8:11], s[0:1], 0x0
	s_ashr_i32 s0, s3, 31
	v_cvt_f32_i32_e32 v2, s5
	v_ashrrev_i32_e32 v1, 31, v0
	s_waitcnt lgkmcnt(0)
	s_mul_hi_u32 s1, s10, s3
	s_mul_i32 s2, s10, s0
	s_mul_i32 s4, s11, s3
	s_add_i32 s1, s1, s2
	s_mul_i32 s0, s10, s3
	s_add_i32 s1, s1, s4
	s_lshl_b64 s[0:1], s[0:1], 2
	s_add_u32 s0, s8, s0
	s_addc_u32 s1, s9, s1
	v_lshl_add_u64 v[0:1], v[0:1], 2, s[0:1]
	global_store_dword v[0:1], v2, off
.LBB2_2:
	s_endpgm
	.section	.rodata,"a",@progbits
	.p2align	6, 0x0
	.amdhsa_kernel _ZN9rocsolver6v33100L16reset_batch_infoIfiiPfEEvT2_lT0_T1_
		.amdhsa_group_segment_fixed_size 0
		.amdhsa_private_segment_fixed_size 0
		.amdhsa_kernarg_size 280
		.amdhsa_user_sgpr_count 2
		.amdhsa_user_sgpr_dispatch_ptr 0
		.amdhsa_user_sgpr_queue_ptr 0
		.amdhsa_user_sgpr_kernarg_segment_ptr 1
		.amdhsa_user_sgpr_dispatch_id 0
		.amdhsa_user_sgpr_kernarg_preload_length 0
		.amdhsa_user_sgpr_kernarg_preload_offset 0
		.amdhsa_user_sgpr_private_segment_size 0
		.amdhsa_uses_dynamic_stack 0
		.amdhsa_enable_private_segment 0
		.amdhsa_system_sgpr_workgroup_id_x 1
		.amdhsa_system_sgpr_workgroup_id_y 1
		.amdhsa_system_sgpr_workgroup_id_z 0
		.amdhsa_system_sgpr_workgroup_info 0
		.amdhsa_system_vgpr_workitem_id 0
		.amdhsa_next_free_vgpr 3
		.amdhsa_next_free_sgpr 12
		.amdhsa_accum_offset 4
		.amdhsa_reserve_vcc 1
		.amdhsa_float_round_mode_32 0
		.amdhsa_float_round_mode_16_64 0
		.amdhsa_float_denorm_mode_32 3
		.amdhsa_float_denorm_mode_16_64 3
		.amdhsa_dx10_clamp 1
		.amdhsa_ieee_mode 1
		.amdhsa_fp16_overflow 0
		.amdhsa_tg_split 0
		.amdhsa_exception_fp_ieee_invalid_op 0
		.amdhsa_exception_fp_denorm_src 0
		.amdhsa_exception_fp_ieee_div_zero 0
		.amdhsa_exception_fp_ieee_overflow 0
		.amdhsa_exception_fp_ieee_underflow 0
		.amdhsa_exception_fp_ieee_inexact 0
		.amdhsa_exception_int_div_zero 0
	.end_amdhsa_kernel
	.section	.text._ZN9rocsolver6v33100L16reset_batch_infoIfiiPfEEvT2_lT0_T1_,"axG",@progbits,_ZN9rocsolver6v33100L16reset_batch_infoIfiiPfEEvT2_lT0_T1_,comdat
.Lfunc_end2:
	.size	_ZN9rocsolver6v33100L16reset_batch_infoIfiiPfEEvT2_lT0_T1_, .Lfunc_end2-_ZN9rocsolver6v33100L16reset_batch_infoIfiiPfEEvT2_lT0_T1_
                                        ; -- End function
	.set _ZN9rocsolver6v33100L16reset_batch_infoIfiiPfEEvT2_lT0_T1_.num_vgpr, 3
	.set _ZN9rocsolver6v33100L16reset_batch_infoIfiiPfEEvT2_lT0_T1_.num_agpr, 0
	.set _ZN9rocsolver6v33100L16reset_batch_infoIfiiPfEEvT2_lT0_T1_.numbered_sgpr, 12
	.set _ZN9rocsolver6v33100L16reset_batch_infoIfiiPfEEvT2_lT0_T1_.num_named_barrier, 0
	.set _ZN9rocsolver6v33100L16reset_batch_infoIfiiPfEEvT2_lT0_T1_.private_seg_size, 0
	.set _ZN9rocsolver6v33100L16reset_batch_infoIfiiPfEEvT2_lT0_T1_.uses_vcc, 1
	.set _ZN9rocsolver6v33100L16reset_batch_infoIfiiPfEEvT2_lT0_T1_.uses_flat_scratch, 0
	.set _ZN9rocsolver6v33100L16reset_batch_infoIfiiPfEEvT2_lT0_T1_.has_dyn_sized_stack, 0
	.set _ZN9rocsolver6v33100L16reset_batch_infoIfiiPfEEvT2_lT0_T1_.has_recursion, 0
	.set _ZN9rocsolver6v33100L16reset_batch_infoIfiiPfEEvT2_lT0_T1_.has_indirect_call, 0
	.section	.AMDGPU.csdata,"",@progbits
; Kernel info:
; codeLenInByte = 128
; TotalNumSgprs: 18
; NumVgprs: 3
; NumAgprs: 0
; TotalNumVgprs: 3
; ScratchSize: 0
; MemoryBound: 0
; FloatMode: 240
; IeeeMode: 1
; LDSByteSize: 0 bytes/workgroup (compile time only)
; SGPRBlocks: 2
; VGPRBlocks: 0
; NumSGPRsForWavesPerEU: 18
; NumVGPRsForWavesPerEU: 3
; AccumOffset: 4
; Occupancy: 8
; WaveLimiterHint : 0
; COMPUTE_PGM_RSRC2:SCRATCH_EN: 0
; COMPUTE_PGM_RSRC2:USER_SGPR: 2
; COMPUTE_PGM_RSRC2:TRAP_HANDLER: 0
; COMPUTE_PGM_RSRC2:TGID_X_EN: 1
; COMPUTE_PGM_RSRC2:TGID_Y_EN: 1
; COMPUTE_PGM_RSRC2:TGID_Z_EN: 0
; COMPUTE_PGM_RSRC2:TIDIG_COMP_CNT: 0
; COMPUTE_PGM_RSRC3_GFX90A:ACCUM_OFFSET: 0
; COMPUTE_PGM_RSRC3_GFX90A:TG_SPLIT: 0
	.section	.text._ZN9rocsolver6v33100L8set_diagIfifPKPfTnNSt9enable_ifIXoont18rocblas_is_complexIT_E18rocblas_is_complexIT1_EEiE4typeELi0EEEvPS7_llT2_lT0_lSC_b,"axG",@progbits,_ZN9rocsolver6v33100L8set_diagIfifPKPfTnNSt9enable_ifIXoont18rocblas_is_complexIT_E18rocblas_is_complexIT1_EEiE4typeELi0EEEvPS7_llT2_lT0_lSC_b,comdat
	.globl	_ZN9rocsolver6v33100L8set_diagIfifPKPfTnNSt9enable_ifIXoont18rocblas_is_complexIT_E18rocblas_is_complexIT1_EEiE4typeELi0EEEvPS7_llT2_lT0_lSC_b ; -- Begin function _ZN9rocsolver6v33100L8set_diagIfifPKPfTnNSt9enable_ifIXoont18rocblas_is_complexIT_E18rocblas_is_complexIT1_EEiE4typeELi0EEEvPS7_llT2_lT0_lSC_b
	.p2align	8
	.type	_ZN9rocsolver6v33100L8set_diagIfifPKPfTnNSt9enable_ifIXoont18rocblas_is_complexIT_E18rocblas_is_complexIT1_EEiE4typeELi0EEEvPS7_llT2_lT0_lSC_b,@function
_ZN9rocsolver6v33100L8set_diagIfifPKPfTnNSt9enable_ifIXoont18rocblas_is_complexIT_E18rocblas_is_complexIT1_EEiE4typeELi0EEEvPS7_llT2_lT0_lSC_b: ; @_ZN9rocsolver6v33100L8set_diagIfifPKPfTnNSt9enable_ifIXoont18rocblas_is_complexIT_E18rocblas_is_complexIT1_EEiE4typeELi0EEEvPS7_llT2_lT0_lSC_b
; %bb.0:
	s_load_dword s4, s[0:1], 0x4c
	s_load_dwordx2 s[12:13], s[0:1], 0x38
	v_bfe_u32 v0, v0, 10, 10
	s_waitcnt lgkmcnt(0)
	s_lshr_b32 s4, s4, 16
	s_mul_i32 s3, s3, s4
	v_add_u32_e32 v0, s3, v0
	v_cmp_gt_i32_e32 vcc, s12, v0
	s_and_saveexec_b64 s[4:5], vcc
	s_cbranch_execz .LBB3_2
; %bb.1:
	s_load_dwordx8 s[4:11], s[0:1], 0x0
	s_load_dwordx2 s[14:15], s[0:1], 0x20
	s_bitcmp1_b32 s13, 0
	s_cselect_b64 s[12:13], -1, 0
	s_ashr_i32 s3, s2, 31
	s_lshl_b64 s[16:17], s[2:3], 3
	s_waitcnt lgkmcnt(0)
	s_add_u32 s10, s10, s16
	s_addc_u32 s11, s11, s17
	s_load_dwordx2 s[16:17], s[10:11], 0x0
	s_load_dword s18, s[0:1], 0x28
	s_lshl_b64 s[0:1], s[14:15], 2
	s_mul_i32 s3, s8, s3
	s_mul_i32 s9, s9, s2
	s_waitcnt lgkmcnt(0)
	s_add_u32 s0, s16, s0
	v_mad_u64_u32 v[2:3], s[10:11], v0, s18, v[0:1]
	s_addc_u32 s1, s17, s1
	v_ashrrev_i32_e32 v3, 31, v2
	v_lshl_add_u64 v[2:3], v[2:3], 2, s[0:1]
	flat_load_dword v4, v[2:3]
	s_mul_hi_u32 s1, s8, s2
	s_add_i32 s1, s1, s3
	s_mul_i32 s0, s8, s2
	s_add_i32 s1, s1, s9
	s_lshl_b64 s[0:1], s[0:1], 2
	s_add_u32 s2, s4, s0
	s_addc_u32 s3, s5, s1
	s_lshl_b64 s[0:1], s[6:7], 2
	s_add_u32 s0, s2, s0
	v_ashrrev_i32_e32 v1, 31, v0
	s_addc_u32 s1, s3, s1
	v_lshl_add_u64 v[0:1], v[0:1], 2, s[0:1]
	s_waitcnt vmcnt(0) lgkmcnt(0)
	global_store_dword v[0:1], v4, off
	v_cndmask_b32_e64 v0, v4, 1.0, s[12:13]
	flat_store_dword v[2:3], v0
.LBB3_2:
	s_endpgm
	.section	.rodata,"a",@progbits
	.p2align	6, 0x0
	.amdhsa_kernel _ZN9rocsolver6v33100L8set_diagIfifPKPfTnNSt9enable_ifIXoont18rocblas_is_complexIT_E18rocblas_is_complexIT1_EEiE4typeELi0EEEvPS7_llT2_lT0_lSC_b
		.amdhsa_group_segment_fixed_size 0
		.amdhsa_private_segment_fixed_size 0
		.amdhsa_kernarg_size 320
		.amdhsa_user_sgpr_count 2
		.amdhsa_user_sgpr_dispatch_ptr 0
		.amdhsa_user_sgpr_queue_ptr 0
		.amdhsa_user_sgpr_kernarg_segment_ptr 1
		.amdhsa_user_sgpr_dispatch_id 0
		.amdhsa_user_sgpr_kernarg_preload_length 0
		.amdhsa_user_sgpr_kernarg_preload_offset 0
		.amdhsa_user_sgpr_private_segment_size 0
		.amdhsa_uses_dynamic_stack 0
		.amdhsa_enable_private_segment 0
		.amdhsa_system_sgpr_workgroup_id_x 1
		.amdhsa_system_sgpr_workgroup_id_y 1
		.amdhsa_system_sgpr_workgroup_id_z 0
		.amdhsa_system_sgpr_workgroup_info 0
		.amdhsa_system_vgpr_workitem_id 1
		.amdhsa_next_free_vgpr 5
		.amdhsa_next_free_sgpr 19
		.amdhsa_accum_offset 8
		.amdhsa_reserve_vcc 1
		.amdhsa_float_round_mode_32 0
		.amdhsa_float_round_mode_16_64 0
		.amdhsa_float_denorm_mode_32 3
		.amdhsa_float_denorm_mode_16_64 3
		.amdhsa_dx10_clamp 1
		.amdhsa_ieee_mode 1
		.amdhsa_fp16_overflow 0
		.amdhsa_tg_split 0
		.amdhsa_exception_fp_ieee_invalid_op 0
		.amdhsa_exception_fp_denorm_src 0
		.amdhsa_exception_fp_ieee_div_zero 0
		.amdhsa_exception_fp_ieee_overflow 0
		.amdhsa_exception_fp_ieee_underflow 0
		.amdhsa_exception_fp_ieee_inexact 0
		.amdhsa_exception_int_div_zero 0
	.end_amdhsa_kernel
	.section	.text._ZN9rocsolver6v33100L8set_diagIfifPKPfTnNSt9enable_ifIXoont18rocblas_is_complexIT_E18rocblas_is_complexIT1_EEiE4typeELi0EEEvPS7_llT2_lT0_lSC_b,"axG",@progbits,_ZN9rocsolver6v33100L8set_diagIfifPKPfTnNSt9enable_ifIXoont18rocblas_is_complexIT_E18rocblas_is_complexIT1_EEiE4typeELi0EEEvPS7_llT2_lT0_lSC_b,comdat
.Lfunc_end3:
	.size	_ZN9rocsolver6v33100L8set_diagIfifPKPfTnNSt9enable_ifIXoont18rocblas_is_complexIT_E18rocblas_is_complexIT1_EEiE4typeELi0EEEvPS7_llT2_lT0_lSC_b, .Lfunc_end3-_ZN9rocsolver6v33100L8set_diagIfifPKPfTnNSt9enable_ifIXoont18rocblas_is_complexIT_E18rocblas_is_complexIT1_EEiE4typeELi0EEEvPS7_llT2_lT0_lSC_b
                                        ; -- End function
	.set _ZN9rocsolver6v33100L8set_diagIfifPKPfTnNSt9enable_ifIXoont18rocblas_is_complexIT_E18rocblas_is_complexIT1_EEiE4typeELi0EEEvPS7_llT2_lT0_lSC_b.num_vgpr, 5
	.set _ZN9rocsolver6v33100L8set_diagIfifPKPfTnNSt9enable_ifIXoont18rocblas_is_complexIT_E18rocblas_is_complexIT1_EEiE4typeELi0EEEvPS7_llT2_lT0_lSC_b.num_agpr, 0
	.set _ZN9rocsolver6v33100L8set_diagIfifPKPfTnNSt9enable_ifIXoont18rocblas_is_complexIT_E18rocblas_is_complexIT1_EEiE4typeELi0EEEvPS7_llT2_lT0_lSC_b.numbered_sgpr, 19
	.set _ZN9rocsolver6v33100L8set_diagIfifPKPfTnNSt9enable_ifIXoont18rocblas_is_complexIT_E18rocblas_is_complexIT1_EEiE4typeELi0EEEvPS7_llT2_lT0_lSC_b.num_named_barrier, 0
	.set _ZN9rocsolver6v33100L8set_diagIfifPKPfTnNSt9enable_ifIXoont18rocblas_is_complexIT_E18rocblas_is_complexIT1_EEiE4typeELi0EEEvPS7_llT2_lT0_lSC_b.private_seg_size, 0
	.set _ZN9rocsolver6v33100L8set_diagIfifPKPfTnNSt9enable_ifIXoont18rocblas_is_complexIT_E18rocblas_is_complexIT1_EEiE4typeELi0EEEvPS7_llT2_lT0_lSC_b.uses_vcc, 1
	.set _ZN9rocsolver6v33100L8set_diagIfifPKPfTnNSt9enable_ifIXoont18rocblas_is_complexIT_E18rocblas_is_complexIT1_EEiE4typeELi0EEEvPS7_llT2_lT0_lSC_b.uses_flat_scratch, 0
	.set _ZN9rocsolver6v33100L8set_diagIfifPKPfTnNSt9enable_ifIXoont18rocblas_is_complexIT_E18rocblas_is_complexIT1_EEiE4typeELi0EEEvPS7_llT2_lT0_lSC_b.has_dyn_sized_stack, 0
	.set _ZN9rocsolver6v33100L8set_diagIfifPKPfTnNSt9enable_ifIXoont18rocblas_is_complexIT_E18rocblas_is_complexIT1_EEiE4typeELi0EEEvPS7_llT2_lT0_lSC_b.has_recursion, 0
	.set _ZN9rocsolver6v33100L8set_diagIfifPKPfTnNSt9enable_ifIXoont18rocblas_is_complexIT_E18rocblas_is_complexIT1_EEiE4typeELi0EEEvPS7_llT2_lT0_lSC_b.has_indirect_call, 0
	.section	.AMDGPU.csdata,"",@progbits
; Kernel info:
; codeLenInByte = 248
; TotalNumSgprs: 25
; NumVgprs: 5
; NumAgprs: 0
; TotalNumVgprs: 5
; ScratchSize: 0
; MemoryBound: 0
; FloatMode: 240
; IeeeMode: 1
; LDSByteSize: 0 bytes/workgroup (compile time only)
; SGPRBlocks: 3
; VGPRBlocks: 0
; NumSGPRsForWavesPerEU: 25
; NumVGPRsForWavesPerEU: 5
; AccumOffset: 8
; Occupancy: 8
; WaveLimiterHint : 1
; COMPUTE_PGM_RSRC2:SCRATCH_EN: 0
; COMPUTE_PGM_RSRC2:USER_SGPR: 2
; COMPUTE_PGM_RSRC2:TRAP_HANDLER: 0
; COMPUTE_PGM_RSRC2:TGID_X_EN: 1
; COMPUTE_PGM_RSRC2:TGID_Y_EN: 1
; COMPUTE_PGM_RSRC2:TGID_Z_EN: 0
; COMPUTE_PGM_RSRC2:TIDIG_COMP_CNT: 1
; COMPUTE_PGM_RSRC3_GFX90A:ACCUM_OFFSET: 1
; COMPUTE_PGM_RSRC3_GFX90A:TG_SPLIT: 0
	.section	.text._ZN9rocsolver6v33100L11set_taubetaIfifPKPfEEvPT_lS6_T2_llPT1_ll,"axG",@progbits,_ZN9rocsolver6v33100L11set_taubetaIfifPKPfEEvPT_lS6_T2_llPT1_ll,comdat
	.globl	_ZN9rocsolver6v33100L11set_taubetaIfifPKPfEEvPT_lS6_T2_llPT1_ll ; -- Begin function _ZN9rocsolver6v33100L11set_taubetaIfifPKPfEEvPT_lS6_T2_llPT1_ll
	.p2align	8
	.type	_ZN9rocsolver6v33100L11set_taubetaIfifPKPfEEvPT_lS6_T2_llPT1_ll,@function
_ZN9rocsolver6v33100L11set_taubetaIfifPKPfEEvPT_lS6_T2_llPT1_ll: ; @_ZN9rocsolver6v33100L11set_taubetaIfifPKPfEEvPT_lS6_T2_llPT1_ll
; %bb.0:
	s_load_dwordx8 s[4:11], s[0:1], 0x0
	s_load_dwordx2 s[20:21], s[0:1], 0x20
	s_load_dwordx4 s[12:15], s[0:1], 0x30
	s_ashr_i32 s3, s2, 31
	s_lshl_b64 s[16:17], s[2:3], 3
	s_waitcnt lgkmcnt(0)
	s_add_u32 s10, s10, s16
	s_addc_u32 s11, s11, s17
	s_load_dwordx2 s[10:11], s[10:11], 0x0
	s_mov_b64 s[18:19], 0
	s_cmp_eq_u64 s[12:13], 0
	s_mov_b64 s[16:17], 0
	s_cbranch_scc1 .LBB4_2
; %bb.1:
	s_load_dwordx2 s[0:1], s[0:1], 0x40
	s_waitcnt lgkmcnt(0)
	s_mul_i32 s16, s0, s3
	s_mul_hi_u32 s17, s0, s2
	s_mul_i32 s1, s1, s2
	s_add_i32 s16, s17, s16
	s_mul_i32 s0, s0, s2
	s_add_i32 s1, s16, s1
	s_lshl_b64 s[0:1], s[0:1], 2
	s_add_u32 s12, s12, s0
	s_addc_u32 s13, s13, s1
	s_lshl_b64 s[0:1], s[14:15], 2
	s_add_u32 s16, s12, s0
	s_addc_u32 s17, s13, s1
.LBB4_2:
	s_lshl_b64 s[0:1], s[20:21], 2
	s_waitcnt lgkmcnt(0)
	s_add_u32 s10, s10, s0
	s_addc_u32 s11, s11, s1
	s_mul_i32 s0, s6, s3
	s_mul_hi_u32 s1, s6, s2
	s_add_i32 s0, s1, s0
	s_mul_i32 s1, s7, s2
	s_add_i32 s1, s0, s1
	s_mul_i32 s0, s6, s2
	s_lshl_b64 s[0:1], s[0:1], 2
	s_add_u32 s4, s4, s0
	s_addc_u32 s5, s5, s1
	s_lshl_b64 s[0:1], s[2:3], 2
	s_add_u32 s8, s8, s0
	s_addc_u32 s9, s9, s1
	s_load_dword s12, s[8:9], 0x0
	s_cmp_eq_u64 s[16:17], 0
	s_cselect_b64 s[2:3], -1, 0
	s_cmp_lg_u64 s[16:17], 0
	s_cselect_b64 s[6:7], -1, 0
	s_waitcnt lgkmcnt(0)
	v_cmp_ngt_f32_e64 s[0:1], s12, 0
	s_and_b64 vcc, exec, s[0:1]
	s_cbranch_vccz .LBB4_7
; %bb.3:
	v_mov_b32_e32 v0, 1.0
	v_mov_b32_e32 v1, 0
	s_mov_b64 s[0:1], 0
	s_and_b64 vcc, exec, s[6:7]
	global_store_dword v1, v0, s[8:9]
	global_store_dword v1, v1, s[4:5]
                                        ; implicit-def: $vgpr0
	s_cbranch_vccz .LBB4_5
; %bb.4:
	v_mov_b64_e32 v[0:1], s[10:11]
	flat_load_dword v0, v[0:1]
	s_mov_b64 s[18:19], -1
.LBB4_5:
	s_and_b64 vcc, exec, s[0:1]
	s_cbranch_vccz .LBB4_8
.LBB4_6:
	v_mov_b64_e32 v[2:3], s[10:11]
	flat_load_dword v1, v[2:3]
	s_mov_b32 s0, 0xf800000
	v_mov_b32_e32 v5, 0x260
	s_mov_b64 s[18:19], s[6:7]
	s_waitcnt vmcnt(0) lgkmcnt(0)
	v_fma_f32 v0, v1, v1, s12
	v_mul_f32_e32 v4, 0x4f800000, v0
	v_cmp_gt_f32_e32 vcc, s0, v0
	s_nop 1
	v_cndmask_b32_e32 v0, v0, v4, vcc
	v_sqrt_f32_e32 v4, v0
	s_nop 0
	v_add_u32_e32 v6, -1, v4
	v_add_u32_e32 v7, 1, v4
	v_fma_f32 v8, -v6, v4, v0
	v_fma_f32 v9, -v7, v4, v0
	v_cmp_ge_f32_e64 s[0:1], 0, v8
	s_nop 1
	v_cndmask_b32_e64 v4, v4, v6, s[0:1]
	v_cmp_lt_f32_e64 s[0:1], 0, v9
	s_nop 1
	v_cndmask_b32_e64 v4, v4, v7, s[0:1]
	v_mul_f32_e32 v6, 0x37800000, v4
	v_cndmask_b32_e32 v4, v4, v6, vcc
	v_cmp_class_f32_e32 vcc, v0, v5
	v_mov_b32_e32 v6, 0
	s_nop 0
	v_cndmask_b32_e32 v0, v4, v0, vcc
	v_cmp_le_f32_e32 vcc, 0, v1
	s_nop 1
	v_cndmask_b32_e64 v0, v0, -v0, vcc
	v_sub_f32_e32 v1, v1, v0
	v_div_scale_f32 v4, s[0:1], v1, v1, 1.0
	v_rcp_f32_e32 v5, v4
	v_div_scale_f32 v7, vcc, 1.0, v1, 1.0
	v_fma_f32 v8, -v4, v5, 1.0
	v_fmac_f32_e32 v5, v8, v5
	v_mul_f32_e32 v8, v7, v5
	v_fma_f32 v9, -v4, v8, v7
	v_fmac_f32_e32 v8, v9, v5
	v_fma_f32 v4, -v4, v8, v7
	v_div_fmas_f32 v4, v4, v5, v8
	v_div_fixup_f32 v1, v4, v1, 1.0
	global_store_dword v6, v1, s[8:9]
	flat_load_dword v1, v[2:3]
	s_waitcnt vmcnt(0) lgkmcnt(0)
	v_sub_f32_e32 v1, v0, v1
	v_div_scale_f32 v2, s[0:1], v0, v0, v1
	v_rcp_f32_e32 v3, v2
	v_div_scale_f32 v4, vcc, v1, v0, v1
	v_fma_f32 v5, -v2, v3, 1.0
	v_fmac_f32_e32 v3, v5, v3
	v_mul_f32_e32 v5, v4, v3
	v_fma_f32 v7, -v2, v5, v4
	v_fmac_f32_e32 v5, v7, v3
	v_fma_f32 v2, -v2, v5, v4
	v_div_fmas_f32 v2, v2, v3, v5
	v_div_fixup_f32 v1, v2, v0, v1
	global_store_dword v6, v1, s[4:5]
	s_andn2_b64 vcc, exec, s[18:19]
	s_cbranch_vccz .LBB4_9
	s_branch .LBB4_10
.LBB4_7:
                                        ; implicit-def: $vgpr0
	s_cbranch_execnz .LBB4_6
.LBB4_8:
	s_mov_b64 s[2:3], 0
	s_andn2_b64 vcc, exec, s[18:19]
	s_cbranch_vccnz .LBB4_10
.LBB4_9:
	v_mov_b32_e32 v1, 0
	s_waitcnt vmcnt(0) lgkmcnt(0)
	global_store_dword v1, v0, s[16:17]
	s_mov_b64 s[2:3], -1
	v_mov_b32_e32 v0, 1.0
.LBB4_10:
	s_andn2_b64 vcc, exec, s[2:3]
	s_cbranch_vccz .LBB4_12
; %bb.11:
	s_endpgm
.LBB4_12:
	v_mov_b64_e32 v[2:3], s[10:11]
	s_waitcnt vmcnt(0) lgkmcnt(0)
	flat_store_dword v[2:3], v0
	s_endpgm
	.section	.rodata,"a",@progbits
	.p2align	6, 0x0
	.amdhsa_kernel _ZN9rocsolver6v33100L11set_taubetaIfifPKPfEEvPT_lS6_T2_llPT1_ll
		.amdhsa_group_segment_fixed_size 0
		.amdhsa_private_segment_fixed_size 0
		.amdhsa_kernarg_size 72
		.amdhsa_user_sgpr_count 2
		.amdhsa_user_sgpr_dispatch_ptr 0
		.amdhsa_user_sgpr_queue_ptr 0
		.amdhsa_user_sgpr_kernarg_segment_ptr 1
		.amdhsa_user_sgpr_dispatch_id 0
		.amdhsa_user_sgpr_kernarg_preload_length 0
		.amdhsa_user_sgpr_kernarg_preload_offset 0
		.amdhsa_user_sgpr_private_segment_size 0
		.amdhsa_uses_dynamic_stack 0
		.amdhsa_enable_private_segment 0
		.amdhsa_system_sgpr_workgroup_id_x 1
		.amdhsa_system_sgpr_workgroup_id_y 0
		.amdhsa_system_sgpr_workgroup_id_z 0
		.amdhsa_system_sgpr_workgroup_info 0
		.amdhsa_system_vgpr_workitem_id 0
		.amdhsa_next_free_vgpr 10
		.amdhsa_next_free_sgpr 22
		.amdhsa_accum_offset 12
		.amdhsa_reserve_vcc 1
		.amdhsa_float_round_mode_32 0
		.amdhsa_float_round_mode_16_64 0
		.amdhsa_float_denorm_mode_32 3
		.amdhsa_float_denorm_mode_16_64 3
		.amdhsa_dx10_clamp 1
		.amdhsa_ieee_mode 1
		.amdhsa_fp16_overflow 0
		.amdhsa_tg_split 0
		.amdhsa_exception_fp_ieee_invalid_op 0
		.amdhsa_exception_fp_denorm_src 0
		.amdhsa_exception_fp_ieee_div_zero 0
		.amdhsa_exception_fp_ieee_overflow 0
		.amdhsa_exception_fp_ieee_underflow 0
		.amdhsa_exception_fp_ieee_inexact 0
		.amdhsa_exception_int_div_zero 0
	.end_amdhsa_kernel
	.section	.text._ZN9rocsolver6v33100L11set_taubetaIfifPKPfEEvPT_lS6_T2_llPT1_ll,"axG",@progbits,_ZN9rocsolver6v33100L11set_taubetaIfifPKPfEEvPT_lS6_T2_llPT1_ll,comdat
.Lfunc_end4:
	.size	_ZN9rocsolver6v33100L11set_taubetaIfifPKPfEEvPT_lS6_T2_llPT1_ll, .Lfunc_end4-_ZN9rocsolver6v33100L11set_taubetaIfifPKPfEEvPT_lS6_T2_llPT1_ll
                                        ; -- End function
	.set _ZN9rocsolver6v33100L11set_taubetaIfifPKPfEEvPT_lS6_T2_llPT1_ll.num_vgpr, 10
	.set _ZN9rocsolver6v33100L11set_taubetaIfifPKPfEEvPT_lS6_T2_llPT1_ll.num_agpr, 0
	.set _ZN9rocsolver6v33100L11set_taubetaIfifPKPfEEvPT_lS6_T2_llPT1_ll.numbered_sgpr, 22
	.set _ZN9rocsolver6v33100L11set_taubetaIfifPKPfEEvPT_lS6_T2_llPT1_ll.num_named_barrier, 0
	.set _ZN9rocsolver6v33100L11set_taubetaIfifPKPfEEvPT_lS6_T2_llPT1_ll.private_seg_size, 0
	.set _ZN9rocsolver6v33100L11set_taubetaIfifPKPfEEvPT_lS6_T2_llPT1_ll.uses_vcc, 1
	.set _ZN9rocsolver6v33100L11set_taubetaIfifPKPfEEvPT_lS6_T2_llPT1_ll.uses_flat_scratch, 0
	.set _ZN9rocsolver6v33100L11set_taubetaIfifPKPfEEvPT_lS6_T2_llPT1_ll.has_dyn_sized_stack, 0
	.set _ZN9rocsolver6v33100L11set_taubetaIfifPKPfEEvPT_lS6_T2_llPT1_ll.has_recursion, 0
	.set _ZN9rocsolver6v33100L11set_taubetaIfifPKPfEEvPT_lS6_T2_llPT1_ll.has_indirect_call, 0
	.section	.AMDGPU.csdata,"",@progbits
; Kernel info:
; codeLenInByte = 740
; TotalNumSgprs: 28
; NumVgprs: 10
; NumAgprs: 0
; TotalNumVgprs: 10
; ScratchSize: 0
; MemoryBound: 0
; FloatMode: 240
; IeeeMode: 1
; LDSByteSize: 0 bytes/workgroup (compile time only)
; SGPRBlocks: 3
; VGPRBlocks: 1
; NumSGPRsForWavesPerEU: 28
; NumVGPRsForWavesPerEU: 10
; AccumOffset: 12
; Occupancy: 8
; WaveLimiterHint : 1
; COMPUTE_PGM_RSRC2:SCRATCH_EN: 0
; COMPUTE_PGM_RSRC2:USER_SGPR: 2
; COMPUTE_PGM_RSRC2:TRAP_HANDLER: 0
; COMPUTE_PGM_RSRC2:TGID_X_EN: 1
; COMPUTE_PGM_RSRC2:TGID_Y_EN: 0
; COMPUTE_PGM_RSRC2:TGID_Z_EN: 0
; COMPUTE_PGM_RSRC2:TIDIG_COMP_CNT: 0
; COMPUTE_PGM_RSRC3_GFX90A:ACCUM_OFFSET: 2
; COMPUTE_PGM_RSRC3_GFX90A:TG_SPLIT: 0
	.section	.text._ZN9rocsolver6v33100L13conj_in_placeIfiPfTnNSt9enable_ifIXnt18rocblas_is_complexIT_EEiE4typeELi0EEEvT0_S7_T1_lS7_l,"axG",@progbits,_ZN9rocsolver6v33100L13conj_in_placeIfiPfTnNSt9enable_ifIXnt18rocblas_is_complexIT_EEiE4typeELi0EEEvT0_S7_T1_lS7_l,comdat
	.globl	_ZN9rocsolver6v33100L13conj_in_placeIfiPfTnNSt9enable_ifIXnt18rocblas_is_complexIT_EEiE4typeELi0EEEvT0_S7_T1_lS7_l ; -- Begin function _ZN9rocsolver6v33100L13conj_in_placeIfiPfTnNSt9enable_ifIXnt18rocblas_is_complexIT_EEiE4typeELi0EEEvT0_S7_T1_lS7_l
	.p2align	8
	.type	_ZN9rocsolver6v33100L13conj_in_placeIfiPfTnNSt9enable_ifIXnt18rocblas_is_complexIT_EEiE4typeELi0EEEvT0_S7_T1_lS7_l,@function
_ZN9rocsolver6v33100L13conj_in_placeIfiPfTnNSt9enable_ifIXnt18rocblas_is_complexIT_EEiE4typeELi0EEEvT0_S7_T1_lS7_l: ; @_ZN9rocsolver6v33100L13conj_in_placeIfiPfTnNSt9enable_ifIXnt18rocblas_is_complexIT_EEiE4typeELi0EEEvT0_S7_T1_lS7_l
; %bb.0:
	s_endpgm
	.section	.rodata,"a",@progbits
	.p2align	6, 0x0
	.amdhsa_kernel _ZN9rocsolver6v33100L13conj_in_placeIfiPfTnNSt9enable_ifIXnt18rocblas_is_complexIT_EEiE4typeELi0EEEvT0_S7_T1_lS7_l
		.amdhsa_group_segment_fixed_size 0
		.amdhsa_private_segment_fixed_size 0
		.amdhsa_kernarg_size 40
		.amdhsa_user_sgpr_count 2
		.amdhsa_user_sgpr_dispatch_ptr 0
		.amdhsa_user_sgpr_queue_ptr 0
		.amdhsa_user_sgpr_kernarg_segment_ptr 1
		.amdhsa_user_sgpr_dispatch_id 0
		.amdhsa_user_sgpr_kernarg_preload_length 0
		.amdhsa_user_sgpr_kernarg_preload_offset 0
		.amdhsa_user_sgpr_private_segment_size 0
		.amdhsa_uses_dynamic_stack 0
		.amdhsa_enable_private_segment 0
		.amdhsa_system_sgpr_workgroup_id_x 1
		.amdhsa_system_sgpr_workgroup_id_y 0
		.amdhsa_system_sgpr_workgroup_id_z 0
		.amdhsa_system_sgpr_workgroup_info 0
		.amdhsa_system_vgpr_workitem_id 0
		.amdhsa_next_free_vgpr 1
		.amdhsa_next_free_sgpr 0
		.amdhsa_accum_offset 4
		.amdhsa_reserve_vcc 0
		.amdhsa_float_round_mode_32 0
		.amdhsa_float_round_mode_16_64 0
		.amdhsa_float_denorm_mode_32 3
		.amdhsa_float_denorm_mode_16_64 3
		.amdhsa_dx10_clamp 1
		.amdhsa_ieee_mode 1
		.amdhsa_fp16_overflow 0
		.amdhsa_tg_split 0
		.amdhsa_exception_fp_ieee_invalid_op 0
		.amdhsa_exception_fp_denorm_src 0
		.amdhsa_exception_fp_ieee_div_zero 0
		.amdhsa_exception_fp_ieee_overflow 0
		.amdhsa_exception_fp_ieee_underflow 0
		.amdhsa_exception_fp_ieee_inexact 0
		.amdhsa_exception_int_div_zero 0
	.end_amdhsa_kernel
	.section	.text._ZN9rocsolver6v33100L13conj_in_placeIfiPfTnNSt9enable_ifIXnt18rocblas_is_complexIT_EEiE4typeELi0EEEvT0_S7_T1_lS7_l,"axG",@progbits,_ZN9rocsolver6v33100L13conj_in_placeIfiPfTnNSt9enable_ifIXnt18rocblas_is_complexIT_EEiE4typeELi0EEEvT0_S7_T1_lS7_l,comdat
.Lfunc_end5:
	.size	_ZN9rocsolver6v33100L13conj_in_placeIfiPfTnNSt9enable_ifIXnt18rocblas_is_complexIT_EEiE4typeELi0EEEvT0_S7_T1_lS7_l, .Lfunc_end5-_ZN9rocsolver6v33100L13conj_in_placeIfiPfTnNSt9enable_ifIXnt18rocblas_is_complexIT_EEiE4typeELi0EEEvT0_S7_T1_lS7_l
                                        ; -- End function
	.set _ZN9rocsolver6v33100L13conj_in_placeIfiPfTnNSt9enable_ifIXnt18rocblas_is_complexIT_EEiE4typeELi0EEEvT0_S7_T1_lS7_l.num_vgpr, 0
	.set _ZN9rocsolver6v33100L13conj_in_placeIfiPfTnNSt9enable_ifIXnt18rocblas_is_complexIT_EEiE4typeELi0EEEvT0_S7_T1_lS7_l.num_agpr, 0
	.set _ZN9rocsolver6v33100L13conj_in_placeIfiPfTnNSt9enable_ifIXnt18rocblas_is_complexIT_EEiE4typeELi0EEEvT0_S7_T1_lS7_l.numbered_sgpr, 0
	.set _ZN9rocsolver6v33100L13conj_in_placeIfiPfTnNSt9enable_ifIXnt18rocblas_is_complexIT_EEiE4typeELi0EEEvT0_S7_T1_lS7_l.num_named_barrier, 0
	.set _ZN9rocsolver6v33100L13conj_in_placeIfiPfTnNSt9enable_ifIXnt18rocblas_is_complexIT_EEiE4typeELi0EEEvT0_S7_T1_lS7_l.private_seg_size, 0
	.set _ZN9rocsolver6v33100L13conj_in_placeIfiPfTnNSt9enable_ifIXnt18rocblas_is_complexIT_EEiE4typeELi0EEEvT0_S7_T1_lS7_l.uses_vcc, 0
	.set _ZN9rocsolver6v33100L13conj_in_placeIfiPfTnNSt9enable_ifIXnt18rocblas_is_complexIT_EEiE4typeELi0EEEvT0_S7_T1_lS7_l.uses_flat_scratch, 0
	.set _ZN9rocsolver6v33100L13conj_in_placeIfiPfTnNSt9enable_ifIXnt18rocblas_is_complexIT_EEiE4typeELi0EEEvT0_S7_T1_lS7_l.has_dyn_sized_stack, 0
	.set _ZN9rocsolver6v33100L13conj_in_placeIfiPfTnNSt9enable_ifIXnt18rocblas_is_complexIT_EEiE4typeELi0EEEvT0_S7_T1_lS7_l.has_recursion, 0
	.set _ZN9rocsolver6v33100L13conj_in_placeIfiPfTnNSt9enable_ifIXnt18rocblas_is_complexIT_EEiE4typeELi0EEEvT0_S7_T1_lS7_l.has_indirect_call, 0
	.section	.AMDGPU.csdata,"",@progbits
; Kernel info:
; codeLenInByte = 4
; TotalNumSgprs: 6
; NumVgprs: 0
; NumAgprs: 0
; TotalNumVgprs: 0
; ScratchSize: 0
; MemoryBound: 0
; FloatMode: 240
; IeeeMode: 1
; LDSByteSize: 0 bytes/workgroup (compile time only)
; SGPRBlocks: 0
; VGPRBlocks: 0
; NumSGPRsForWavesPerEU: 6
; NumVGPRsForWavesPerEU: 1
; AccumOffset: 4
; Occupancy: 8
; WaveLimiterHint : 0
; COMPUTE_PGM_RSRC2:SCRATCH_EN: 0
; COMPUTE_PGM_RSRC2:USER_SGPR: 2
; COMPUTE_PGM_RSRC2:TRAP_HANDLER: 0
; COMPUTE_PGM_RSRC2:TGID_X_EN: 1
; COMPUTE_PGM_RSRC2:TGID_Y_EN: 0
; COMPUTE_PGM_RSRC2:TGID_Z_EN: 0
; COMPUTE_PGM_RSRC2:TIDIG_COMP_CNT: 0
; COMPUTE_PGM_RSRC3_GFX90A:ACCUM_OFFSET: 0
; COMPUTE_PGM_RSRC3_GFX90A:TG_SPLIT: 0
	.section	.text._ZN9rocsolver6v33100L16larf_left_kernelILi1024EfiPKPfEEvT1_S5_T2_lS5_lPKT0_lS6_lS5_l,"axG",@progbits,_ZN9rocsolver6v33100L16larf_left_kernelILi1024EfiPKPfEEvT1_S5_T2_lS5_lPKT0_lS6_lS5_l,comdat
	.globl	_ZN9rocsolver6v33100L16larf_left_kernelILi1024EfiPKPfEEvT1_S5_T2_lS5_lPKT0_lS6_lS5_l ; -- Begin function _ZN9rocsolver6v33100L16larf_left_kernelILi1024EfiPKPfEEvT1_S5_T2_lS5_lPKT0_lS6_lS5_l
	.p2align	8
	.type	_ZN9rocsolver6v33100L16larf_left_kernelILi1024EfiPKPfEEvT1_S5_T2_lS5_lPKT0_lS6_lS5_l,@function
_ZN9rocsolver6v33100L16larf_left_kernelILi1024EfiPKPfEEvT1_S5_T2_lS5_lPKT0_lS6_lS5_l: ; @_ZN9rocsolver6v33100L16larf_left_kernelILi1024EfiPKPfEEvT1_S5_T2_lS5_lPKT0_lS6_lS5_l
; %bb.0:
	s_load_dwordx8 s[8:15], s[0:1], 0x28
	s_load_dword s20, s[0:1], 0x0
	s_load_dword s2, s[0:1], 0x48
	s_ashr_i32 s5, s4, 31
	s_lshl_b64 s[16:17], s[4:5], 3
	s_waitcnt lgkmcnt(0)
	s_add_u32 s6, s12, s16
	s_addc_u32 s7, s13, s17
	s_load_dwordx2 s[6:7], s[6:7], 0x0
	v_cmp_gt_i32_e32 vcc, s20, v0
	v_mov_b32_e32 v5, 0
	v_lshlrev_b32_e32 v2, 2, v0
	s_mul_hi_i32 s13, s3, s2
	s_mul_i32 s12, s3, s2
	s_and_saveexec_b64 s[2:3], vcc
	s_cbranch_execz .LBB6_6
; %bb.1:
	s_load_dword s18, s[0:1], 0x18
	s_load_dwordx4 s[24:27], s[0:1], 0x8
	s_sub_i32 s0, 1, s20
	v_add3_u32 v1, v2, 0, 64
	v_mov_b32_e32 v3, v1
	s_waitcnt lgkmcnt(0)
	s_ashr_i32 s19, s18, 31
	s_mul_i32 s21, s18, s0
	v_cmp_lt_i64_e64 s[0:1], s[18:19], 1
	s_and_b64 s[0:1], s[0:1], exec
	s_cselect_b32 s0, s21, 0
	s_ashr_i32 s1, s0, 31
	s_add_u32 s16, s24, s16
	s_addc_u32 s17, s25, s17
	s_load_dwordx2 s[16:17], s[16:17], 0x0
	v_mad_i64_i32 v[4:5], s[22:23], s18, v0, 0
	s_lshl_b64 s[22:23], s[26:27], 2
	s_lshl_b64 s[0:1], s[0:1], 2
	s_waitcnt lgkmcnt(0)
	s_add_u32 s0, s16, s0
	s_addc_u32 s1, s17, s1
	s_add_u32 s0, s0, s22
	s_addc_u32 s1, s1, s23
	v_lshl_add_u64 v[4:5], v[4:5], 2, s[0:1]
	s_lshl_b64 s[18:19], s[18:19], 12
	s_mov_b64 s[16:17], 0
	v_mov_b32_e32 v6, v0
.LBB6_2:                                ; =>This Inner Loop Header: Depth=1
	flat_load_dword v7, v[4:5]
	v_add_u32_e32 v6, 0x400, v6
	v_cmp_le_i32_e64 s[0:1], s20, v6
	v_lshl_add_u64 v[4:5], v[4:5], 0, s[18:19]
	s_or_b64 s[16:17], s[0:1], s[16:17]
	s_waitcnt vmcnt(0) lgkmcnt(0)
	ds_write_b32 v3, v7
	v_add_u32_e32 v3, 0x1000, v3
	s_andn2_b64 exec, exec, s[16:17]
	s_cbranch_execnz .LBB6_2
; %bb.3:
	s_or_b64 exec, exec, s[16:17]
	s_lshl_b64 s[0:1], s[12:13], 2
	s_lshl_b64 s[16:17], s[14:15], 2
	s_add_u32 s0, s0, s16
	s_addc_u32 s1, s1, s17
	s_add_u32 s0, s6, s0
	v_lshlrev_b32_e32 v4, 2, v0
	v_mov_b32_e32 v5, 0
	s_addc_u32 s1, s7, s1
	v_lshl_add_u64 v[6:7], s[0:1], 0, v[4:5]
	s_mov_b64 s[16:17], 0
	s_mov_b64 s[18:19], 0x1000
	v_mov_b32_e32 v3, v0
.LBB6_4:                                ; =>This Inner Loop Header: Depth=1
	flat_load_dword v4, v[6:7]
	ds_read_b32 v8, v1
	v_add_u32_e32 v3, 0x400, v3
	v_cmp_le_i32_e64 s[0:1], s20, v3
	v_add_u32_e32 v1, 0x1000, v1
	v_lshl_add_u64 v[6:7], v[6:7], 0, s[18:19]
	s_or_b64 s[16:17], s[0:1], s[16:17]
	s_waitcnt vmcnt(0) lgkmcnt(0)
	v_fmac_f32_e32 v5, v4, v8
	s_andn2_b64 exec, exec, s[16:17]
	s_cbranch_execnz .LBB6_4
; %bb.5:
	s_or_b64 exec, exec, s[16:17]
.LBB6_6:
	s_or_b64 exec, exec, s[2:3]
	v_mbcnt_lo_u32_b32 v1, -1, 0
	v_mbcnt_hi_u32_b32 v1, -1, v1
	v_and_b32_e32 v3, 63, v1
	v_cmp_ne_u32_e64 s[0:1], 63, v3
	s_nop 1
	v_addc_co_u32_e64 v4, s[0:1], 0, v1, s[0:1]
	v_lshlrev_b32_e32 v4, 2, v4
	ds_bpermute_b32 v4, v4, v5
	v_cmp_gt_u32_e64 s[0:1], 62, v3
	s_waitcnt lgkmcnt(0)
	v_add_f32_e32 v4, v5, v4
	v_cndmask_b32_e64 v6, 0, 2, s[0:1]
	v_add_lshl_u32 v5, v6, v1, 2
	ds_bpermute_b32 v5, v5, v4
	v_cmp_gt_u32_e64 s[0:1], 60, v3
	s_waitcnt lgkmcnt(0)
	v_add_f32_e32 v4, v4, v5
	v_cndmask_b32_e64 v6, 0, 4, s[0:1]
	v_add_lshl_u32 v6, v6, v1, 2
	;; [unrolled: 6-line block ×4, first 2 shown]
	ds_bpermute_b32 v3, v3, v4
	v_mov_b32_e32 v5, 0x80
	v_lshl_or_b32 v1, v1, 2, v5
	s_waitcnt lgkmcnt(0)
	v_add_f32_e32 v3, v4, v3
	ds_bpermute_b32 v1, v1, v3
	v_and_b32_e32 v4, 63, v0
	v_cmp_eq_u32_e64 s[0:1], 0, v4
	s_waitcnt lgkmcnt(0)
	v_add_f32_e32 v1, v3, v1
	s_and_saveexec_b64 s[2:3], s[0:1]
; %bb.7:
	v_lshrrev_b32_e32 v3, 4, v0
	v_add_u32_e32 v3, 0, v3
	ds_write_b32 v3, v1
; %bb.8:
	s_or_b64 exec, exec, s[2:3]
	v_cmp_eq_u32_e64 s[0:1], 0, v0
	s_waitcnt lgkmcnt(0)
	s_barrier
	s_and_saveexec_b64 s[2:3], s[0:1]
	s_cbranch_execz .LBB6_10
; %bb.9:
	v_mov_b32_e32 v3, 0
	ds_read2_b32 v[4:5], v3 offset0:1 offset1:2
	ds_read2_b32 v[6:7], v3 offset0:3 offset1:4
	ds_read2_b32 v[8:9], v3 offset0:5 offset1:6
	ds_read2_b32 v[10:11], v3 offset0:7 offset1:8
	ds_read2_b32 v[12:13], v3 offset0:9 offset1:10
	s_waitcnt lgkmcnt(4)
	v_add_f32_e32 v1, v1, v4
	v_add_f32_e32 v1, v1, v5
	s_waitcnt lgkmcnt(3)
	v_add_f32_e32 v1, v1, v6
	v_add_f32_e32 v1, v1, v7
	;; [unrolled: 3-line block ×4, first 2 shown]
	ds_read2_b32 v[4:5], v3 offset0:11 offset1:12
	ds_read2_b32 v[6:7], v3 offset0:13 offset1:14
	ds_read_b32 v8, v3 offset:60
	s_waitcnt lgkmcnt(3)
	v_add_f32_e32 v1, v1, v12
	v_add_f32_e32 v1, v1, v13
	s_waitcnt lgkmcnt(2)
	v_add_f32_e32 v1, v1, v4
	v_add_f32_e32 v1, v1, v5
	;; [unrolled: 3-line block ×3, first 2 shown]
	s_waitcnt lgkmcnt(0)
	v_add_f32_e32 v1, v1, v8
	ds_write_b32 v3, v1
.LBB6_10:
	s_or_b64 exec, exec, s[2:3]
	s_waitcnt lgkmcnt(0)
	s_barrier
	s_and_saveexec_b64 s[0:1], vcc
	s_cbranch_execz .LBB6_13
; %bb.11:
	s_mul_i32 s0, s10, s5
	s_mul_hi_u32 s1, s10, s4
	s_add_i32 s0, s1, s0
	s_mul_i32 s1, s11, s4
	s_add_i32 s1, s0, s1
	s_mul_i32 s0, s10, s4
	s_lshl_b64 s[0:1], s[0:1], 2
	s_add_u32 s0, s8, s0
	s_addc_u32 s1, s9, s1
	v_mov_b32_e32 v3, 0
	s_load_dword s0, s[0:1], 0x0
	ds_read_b32 v1, v3
	s_lshl_b64 s[2:3], s[14:15], 2
	v_add3_u32 v4, v2, 0, 64
	s_waitcnt lgkmcnt(0)
	v_mul_f32_e64 v1, v1, -s0
	s_lshl_b64 s[0:1], s[12:13], 2
	s_add_u32 s0, s0, s2
	s_addc_u32 s1, s1, s3
	s_add_u32 s0, s6, s0
	s_addc_u32 s1, s7, s1
	v_lshl_add_u64 v[2:3], s[0:1], 0, v[2:3]
	s_mov_b64 s[0:1], 0
	s_mov_b64 s[2:3], 0x1000
.LBB6_12:                               ; =>This Inner Loop Header: Depth=1
	flat_load_dword v5, v[2:3]
	ds_read_b32 v6, v4
	v_add_u32_e32 v0, 0x400, v0
	v_cmp_le_i32_e32 vcc, s20, v0
	v_add_u32_e32 v4, 0x1000, v4
	s_or_b64 s[0:1], vcc, s[0:1]
	s_waitcnt vmcnt(0) lgkmcnt(0)
	v_fmac_f32_e32 v5, v1, v6
	flat_store_dword v[2:3], v5
	v_lshl_add_u64 v[2:3], v[2:3], 0, s[2:3]
	s_andn2_b64 exec, exec, s[0:1]
	s_cbranch_execnz .LBB6_12
.LBB6_13:
	s_endpgm
	.section	.rodata,"a",@progbits
	.p2align	6, 0x0
	.amdhsa_kernel _ZN9rocsolver6v33100L16larf_left_kernelILi1024EfiPKPfEEvT1_S5_T2_lS5_lPKT0_lS6_lS5_l
		.amdhsa_group_segment_fixed_size 0
		.amdhsa_private_segment_fixed_size 0
		.amdhsa_kernarg_size 88
		.amdhsa_user_sgpr_count 2
		.amdhsa_user_sgpr_dispatch_ptr 0
		.amdhsa_user_sgpr_queue_ptr 0
		.amdhsa_user_sgpr_kernarg_segment_ptr 1
		.amdhsa_user_sgpr_dispatch_id 0
		.amdhsa_user_sgpr_kernarg_preload_length 0
		.amdhsa_user_sgpr_kernarg_preload_offset 0
		.amdhsa_user_sgpr_private_segment_size 0
		.amdhsa_uses_dynamic_stack 0
		.amdhsa_enable_private_segment 0
		.amdhsa_system_sgpr_workgroup_id_x 1
		.amdhsa_system_sgpr_workgroup_id_y 1
		.amdhsa_system_sgpr_workgroup_id_z 1
		.amdhsa_system_sgpr_workgroup_info 0
		.amdhsa_system_vgpr_workitem_id 0
		.amdhsa_next_free_vgpr 14
		.amdhsa_next_free_sgpr 28
		.amdhsa_accum_offset 16
		.amdhsa_reserve_vcc 1
		.amdhsa_float_round_mode_32 0
		.amdhsa_float_round_mode_16_64 0
		.amdhsa_float_denorm_mode_32 3
		.amdhsa_float_denorm_mode_16_64 3
		.amdhsa_dx10_clamp 1
		.amdhsa_ieee_mode 1
		.amdhsa_fp16_overflow 0
		.amdhsa_tg_split 0
		.amdhsa_exception_fp_ieee_invalid_op 0
		.amdhsa_exception_fp_denorm_src 0
		.amdhsa_exception_fp_ieee_div_zero 0
		.amdhsa_exception_fp_ieee_overflow 0
		.amdhsa_exception_fp_ieee_underflow 0
		.amdhsa_exception_fp_ieee_inexact 0
		.amdhsa_exception_int_div_zero 0
	.end_amdhsa_kernel
	.section	.text._ZN9rocsolver6v33100L16larf_left_kernelILi1024EfiPKPfEEvT1_S5_T2_lS5_lPKT0_lS6_lS5_l,"axG",@progbits,_ZN9rocsolver6v33100L16larf_left_kernelILi1024EfiPKPfEEvT1_S5_T2_lS5_lPKT0_lS6_lS5_l,comdat
.Lfunc_end6:
	.size	_ZN9rocsolver6v33100L16larf_left_kernelILi1024EfiPKPfEEvT1_S5_T2_lS5_lPKT0_lS6_lS5_l, .Lfunc_end6-_ZN9rocsolver6v33100L16larf_left_kernelILi1024EfiPKPfEEvT1_S5_T2_lS5_lPKT0_lS6_lS5_l
                                        ; -- End function
	.set _ZN9rocsolver6v33100L16larf_left_kernelILi1024EfiPKPfEEvT1_S5_T2_lS5_lPKT0_lS6_lS5_l.num_vgpr, 14
	.set _ZN9rocsolver6v33100L16larf_left_kernelILi1024EfiPKPfEEvT1_S5_T2_lS5_lPKT0_lS6_lS5_l.num_agpr, 0
	.set _ZN9rocsolver6v33100L16larf_left_kernelILi1024EfiPKPfEEvT1_S5_T2_lS5_lPKT0_lS6_lS5_l.numbered_sgpr, 28
	.set _ZN9rocsolver6v33100L16larf_left_kernelILi1024EfiPKPfEEvT1_S5_T2_lS5_lPKT0_lS6_lS5_l.num_named_barrier, 0
	.set _ZN9rocsolver6v33100L16larf_left_kernelILi1024EfiPKPfEEvT1_S5_T2_lS5_lPKT0_lS6_lS5_l.private_seg_size, 0
	.set _ZN9rocsolver6v33100L16larf_left_kernelILi1024EfiPKPfEEvT1_S5_T2_lS5_lPKT0_lS6_lS5_l.uses_vcc, 1
	.set _ZN9rocsolver6v33100L16larf_left_kernelILi1024EfiPKPfEEvT1_S5_T2_lS5_lPKT0_lS6_lS5_l.uses_flat_scratch, 0
	.set _ZN9rocsolver6v33100L16larf_left_kernelILi1024EfiPKPfEEvT1_S5_T2_lS5_lPKT0_lS6_lS5_l.has_dyn_sized_stack, 0
	.set _ZN9rocsolver6v33100L16larf_left_kernelILi1024EfiPKPfEEvT1_S5_T2_lS5_lPKT0_lS6_lS5_l.has_recursion, 0
	.set _ZN9rocsolver6v33100L16larf_left_kernelILi1024EfiPKPfEEvT1_S5_T2_lS5_lPKT0_lS6_lS5_l.has_indirect_call, 0
	.section	.AMDGPU.csdata,"",@progbits
; Kernel info:
; codeLenInByte = 1112
; TotalNumSgprs: 34
; NumVgprs: 14
; NumAgprs: 0
; TotalNumVgprs: 14
; ScratchSize: 0
; MemoryBound: 0
; FloatMode: 240
; IeeeMode: 1
; LDSByteSize: 0 bytes/workgroup (compile time only)
; SGPRBlocks: 4
; VGPRBlocks: 1
; NumSGPRsForWavesPerEU: 34
; NumVGPRsForWavesPerEU: 14
; AccumOffset: 16
; Occupancy: 8
; WaveLimiterHint : 0
; COMPUTE_PGM_RSRC2:SCRATCH_EN: 0
; COMPUTE_PGM_RSRC2:USER_SGPR: 2
; COMPUTE_PGM_RSRC2:TRAP_HANDLER: 0
; COMPUTE_PGM_RSRC2:TGID_X_EN: 1
; COMPUTE_PGM_RSRC2:TGID_Y_EN: 1
; COMPUTE_PGM_RSRC2:TGID_Z_EN: 1
; COMPUTE_PGM_RSRC2:TIDIG_COMP_CNT: 0
; COMPUTE_PGM_RSRC3_GFX90A:ACCUM_OFFSET: 3
; COMPUTE_PGM_RSRC3_GFX90A:TG_SPLIT: 0
	.section	.text._ZN9rocsolver6v33100L17larf_right_kernelILi1024EfiPKPfEEvT1_S5_T2_lS5_lPKT0_lS6_lS5_l,"axG",@progbits,_ZN9rocsolver6v33100L17larf_right_kernelILi1024EfiPKPfEEvT1_S5_T2_lS5_lPKT0_lS6_lS5_l,comdat
	.globl	_ZN9rocsolver6v33100L17larf_right_kernelILi1024EfiPKPfEEvT1_S5_T2_lS5_lPKT0_lS6_lS5_l ; -- Begin function _ZN9rocsolver6v33100L17larf_right_kernelILi1024EfiPKPfEEvT1_S5_T2_lS5_lPKT0_lS6_lS5_l
	.p2align	8
	.type	_ZN9rocsolver6v33100L17larf_right_kernelILi1024EfiPKPfEEvT1_S5_T2_lS5_lPKT0_lS6_lS5_l,@function
_ZN9rocsolver6v33100L17larf_right_kernelILi1024EfiPKPfEEvT1_S5_T2_lS5_lPKT0_lS6_lS5_l: ; @_ZN9rocsolver6v33100L17larf_right_kernelILi1024EfiPKPfEEvT1_S5_T2_lS5_lPKT0_lS6_lS5_l
; %bb.0:
	s_load_dwordx8 s[8:15], s[0:1], 0x28
	s_load_dword s22, s[0:1], 0x4
	s_load_dword s6, s[0:1], 0x48
	s_ashr_i32 s5, s4, 31
	s_lshl_b64 s[18:19], s[4:5], 3
	s_waitcnt lgkmcnt(0)
	s_add_u32 s12, s12, s18
	s_addc_u32 s13, s13, s19
	s_load_dwordx2 s[12:13], s[12:13], 0x0
	s_mov_b32 s2, s3
	s_ashr_i32 s3, s3, 31
	v_cmp_gt_i32_e32 vcc, s22, v0
	v_mov_b32_e32 v5, 0
	v_lshlrev_b32_e32 v1, 2, v0
	s_and_saveexec_b64 s[16:17], vcc
	s_cbranch_execz .LBB7_6
; %bb.1:
	s_load_dword s20, s[0:1], 0x18
	s_load_dwordx4 s[24:27], s[0:1], 0x8
	s_sub_i32 s0, 1, s22
	v_add3_u32 v4, v1, 0, 64
	v_mov_b32_e32 v5, v4
	s_waitcnt lgkmcnt(0)
	s_ashr_i32 s21, s20, 31
	s_mul_i32 s7, s20, s0
	v_cmp_lt_i64_e64 s[0:1], s[20:21], 1
	s_and_b64 s[0:1], s[0:1], exec
	s_cselect_b32 s0, s7, 0
	s_ashr_i32 s1, s0, 31
	s_add_u32 s18, s24, s18
	s_addc_u32 s19, s25, s19
	s_load_dwordx2 s[18:19], s[18:19], 0x0
	v_mad_i64_i32 v[2:3], s[24:25], s20, v0, 0
	s_lshl_b64 s[24:25], s[26:27], 2
	s_lshl_b64 s[0:1], s[0:1], 2
	s_waitcnt lgkmcnt(0)
	s_add_u32 s0, s18, s0
	s_addc_u32 s1, s19, s1
	s_add_u32 s0, s0, s24
	s_addc_u32 s1, s1, s25
	v_lshl_add_u64 v[2:3], v[2:3], 2, s[0:1]
	s_lshl_b64 s[20:21], s[20:21], 12
	s_mov_b64 s[18:19], 0
	v_mov_b32_e32 v6, v0
.LBB7_2:                                ; =>This Inner Loop Header: Depth=1
	flat_load_dword v7, v[2:3]
	v_add_u32_e32 v6, 0x400, v6
	v_cmp_le_i32_e64 s[0:1], s22, v6
	v_lshl_add_u64 v[2:3], v[2:3], 0, s[20:21]
	s_or_b64 s[18:19], s[0:1], s[18:19]
	s_waitcnt vmcnt(0) lgkmcnt(0)
	ds_write_b32 v5, v7
	v_add_u32_e32 v5, 0x1000, v5
	s_andn2_b64 exec, exec, s[18:19]
	s_cbranch_execnz .LBB7_2
; %bb.3:
	s_or_b64 exec, exec, s[18:19]
	v_mad_i64_i32 v[2:3], s[0:1], s6, v0, 0
	s_ashr_i32 s7, s6, 31
	s_lshl_b64 s[0:1], s[14:15], 2
	s_lshl_b64 s[18:19], s[2:3], 2
	s_add_u32 s18, s12, s18
	s_addc_u32 s19, s13, s19
	s_add_u32 s0, s18, s0
	s_addc_u32 s1, s19, s1
	v_lshl_add_u64 v[2:3], v[2:3], 2, s[0:1]
	s_lshl_b64 s[18:19], s[6:7], 12
	v_mov_b32_e32 v5, 0
	s_mov_b64 s[20:21], 0
	v_mov_b32_e32 v6, v0
.LBB7_4:                                ; =>This Inner Loop Header: Depth=1
	flat_load_dword v7, v[2:3]
	ds_read_b32 v8, v4
	v_add_u32_e32 v6, 0x400, v6
	v_cmp_le_i32_e64 s[0:1], s22, v6
	v_add_u32_e32 v4, 0x1000, v4
	v_lshl_add_u64 v[2:3], v[2:3], 0, s[18:19]
	s_or_b64 s[20:21], s[0:1], s[20:21]
	s_waitcnt vmcnt(0) lgkmcnt(0)
	v_fmac_f32_e32 v5, v7, v8
	s_andn2_b64 exec, exec, s[20:21]
	s_cbranch_execnz .LBB7_4
; %bb.5:
	s_or_b64 exec, exec, s[20:21]
.LBB7_6:
	s_or_b64 exec, exec, s[16:17]
	v_mbcnt_lo_u32_b32 v2, -1, 0
	v_mbcnt_hi_u32_b32 v2, -1, v2
	v_and_b32_e32 v3, 63, v2
	v_cmp_ne_u32_e64 s[0:1], 63, v3
	s_nop 1
	v_addc_co_u32_e64 v4, s[0:1], 0, v2, s[0:1]
	v_lshlrev_b32_e32 v4, 2, v4
	ds_bpermute_b32 v4, v4, v5
	v_cmp_gt_u32_e64 s[0:1], 62, v3
	s_waitcnt lgkmcnt(0)
	v_add_f32_e32 v4, v5, v4
	v_cndmask_b32_e64 v6, 0, 2, s[0:1]
	v_add_lshl_u32 v5, v6, v2, 2
	ds_bpermute_b32 v5, v5, v4
	v_cmp_gt_u32_e64 s[0:1], 60, v3
	s_waitcnt lgkmcnt(0)
	v_add_f32_e32 v4, v4, v5
	v_cndmask_b32_e64 v6, 0, 4, s[0:1]
	v_add_lshl_u32 v6, v6, v2, 2
	;; [unrolled: 6-line block ×4, first 2 shown]
	ds_bpermute_b32 v3, v3, v4
	v_mov_b32_e32 v5, 0x80
	v_lshl_or_b32 v2, v2, 2, v5
	s_waitcnt lgkmcnt(0)
	v_add_f32_e32 v3, v4, v3
	ds_bpermute_b32 v2, v2, v3
	v_and_b32_e32 v4, 63, v0
	v_cmp_eq_u32_e64 s[0:1], 0, v4
	s_waitcnt lgkmcnt(0)
	v_add_f32_e32 v2, v3, v2
	s_and_saveexec_b64 s[16:17], s[0:1]
; %bb.7:
	v_lshrrev_b32_e32 v3, 4, v0
	v_add_u32_e32 v3, 0, v3
	ds_write_b32 v3, v2
; %bb.8:
	s_or_b64 exec, exec, s[16:17]
	v_cmp_eq_u32_e64 s[0:1], 0, v0
	s_waitcnt lgkmcnt(0)
	s_barrier
	s_and_saveexec_b64 s[16:17], s[0:1]
	s_cbranch_execz .LBB7_10
; %bb.9:
	v_mov_b32_e32 v14, 0
	ds_read2_b32 v[4:5], v14 offset0:1 offset1:2
	ds_read2_b32 v[6:7], v14 offset0:3 offset1:4
	;; [unrolled: 1-line block ×5, first 2 shown]
	s_waitcnt lgkmcnt(4)
	v_add_f32_e32 v2, v2, v4
	v_add_f32_e32 v2, v2, v5
	s_waitcnt lgkmcnt(3)
	v_add_f32_e32 v2, v2, v6
	v_add_f32_e32 v2, v2, v7
	;; [unrolled: 3-line block ×4, first 2 shown]
	ds_read2_b32 v[2:3], v14 offset0:11 offset1:12
	ds_read2_b32 v[4:5], v14 offset0:13 offset1:14
	ds_read_b32 v7, v14 offset:60
	s_waitcnt lgkmcnt(3)
	v_add_f32_e32 v6, v6, v12
	v_add_f32_e32 v6, v6, v13
	s_waitcnt lgkmcnt(2)
	v_add_f32_e32 v2, v6, v2
	v_add_f32_e32 v2, v2, v3
	;; [unrolled: 3-line block ×3, first 2 shown]
	s_waitcnt lgkmcnt(0)
	v_add_f32_e32 v2, v2, v7
	ds_write_b32 v14, v2
.LBB7_10:
	s_or_b64 exec, exec, s[16:17]
	s_waitcnt lgkmcnt(0)
	s_barrier
	s_and_saveexec_b64 s[0:1], vcc
	s_cbranch_execz .LBB7_13
; %bb.11:
	s_mul_i32 s0, s10, s5
	s_mul_hi_u32 s1, s10, s4
	s_add_i32 s0, s1, s0
	s_mul_i32 s1, s11, s4
	s_add_i32 s1, s0, s1
	s_mul_i32 s0, s10, s4
	s_lshl_b64 s[0:1], s[0:1], 2
	s_add_u32 s0, s8, s0
	s_addc_u32 s1, s9, s1
	v_mov_b32_e32 v2, 0
	s_load_dword s0, s[0:1], 0x0
	ds_read_b32 v2, v2
	s_ashr_i32 s7, s6, 31
	s_lshl_b64 s[2:3], s[2:3], 2
	v_add3_u32 v1, v1, 0, 64
	s_waitcnt lgkmcnt(0)
	v_mul_f32_e64 v4, v2, -s0
	v_mad_i64_i32 v[2:3], s[0:1], s6, v0, 0
	s_lshl_b64 s[0:1], s[14:15], 2
	s_add_u32 s2, s12, s2
	s_addc_u32 s3, s13, s3
	s_add_u32 s0, s2, s0
	s_addc_u32 s1, s3, s1
	v_lshl_add_u64 v[2:3], v[2:3], 2, s[0:1]
	s_lshl_b64 s[0:1], s[6:7], 12
	s_mov_b64 s[2:3], 0
.LBB7_12:                               ; =>This Inner Loop Header: Depth=1
	flat_load_dword v5, v[2:3]
	ds_read_b32 v6, v1
	v_add_u32_e32 v0, 0x400, v0
	v_cmp_le_i32_e32 vcc, s22, v0
	v_add_u32_e32 v1, 0x1000, v1
	s_or_b64 s[2:3], vcc, s[2:3]
	s_waitcnt vmcnt(0) lgkmcnt(0)
	v_fmac_f32_e32 v5, v4, v6
	flat_store_dword v[2:3], v5
	v_lshl_add_u64 v[2:3], v[2:3], 0, s[0:1]
	s_andn2_b64 exec, exec, s[2:3]
	s_cbranch_execnz .LBB7_12
.LBB7_13:
	s_endpgm
	.section	.rodata,"a",@progbits
	.p2align	6, 0x0
	.amdhsa_kernel _ZN9rocsolver6v33100L17larf_right_kernelILi1024EfiPKPfEEvT1_S5_T2_lS5_lPKT0_lS6_lS5_l
		.amdhsa_group_segment_fixed_size 0
		.amdhsa_private_segment_fixed_size 0
		.amdhsa_kernarg_size 88
		.amdhsa_user_sgpr_count 2
		.amdhsa_user_sgpr_dispatch_ptr 0
		.amdhsa_user_sgpr_queue_ptr 0
		.amdhsa_user_sgpr_kernarg_segment_ptr 1
		.amdhsa_user_sgpr_dispatch_id 0
		.amdhsa_user_sgpr_kernarg_preload_length 0
		.amdhsa_user_sgpr_kernarg_preload_offset 0
		.amdhsa_user_sgpr_private_segment_size 0
		.amdhsa_uses_dynamic_stack 0
		.amdhsa_enable_private_segment 0
		.amdhsa_system_sgpr_workgroup_id_x 1
		.amdhsa_system_sgpr_workgroup_id_y 1
		.amdhsa_system_sgpr_workgroup_id_z 1
		.amdhsa_system_sgpr_workgroup_info 0
		.amdhsa_system_vgpr_workitem_id 0
		.amdhsa_next_free_vgpr 15
		.amdhsa_next_free_sgpr 28
		.amdhsa_accum_offset 16
		.amdhsa_reserve_vcc 1
		.amdhsa_float_round_mode_32 0
		.amdhsa_float_round_mode_16_64 0
		.amdhsa_float_denorm_mode_32 3
		.amdhsa_float_denorm_mode_16_64 3
		.amdhsa_dx10_clamp 1
		.amdhsa_ieee_mode 1
		.amdhsa_fp16_overflow 0
		.amdhsa_tg_split 0
		.amdhsa_exception_fp_ieee_invalid_op 0
		.amdhsa_exception_fp_denorm_src 0
		.amdhsa_exception_fp_ieee_div_zero 0
		.amdhsa_exception_fp_ieee_overflow 0
		.amdhsa_exception_fp_ieee_underflow 0
		.amdhsa_exception_fp_ieee_inexact 0
		.amdhsa_exception_int_div_zero 0
	.end_amdhsa_kernel
	.section	.text._ZN9rocsolver6v33100L17larf_right_kernelILi1024EfiPKPfEEvT1_S5_T2_lS5_lPKT0_lS6_lS5_l,"axG",@progbits,_ZN9rocsolver6v33100L17larf_right_kernelILi1024EfiPKPfEEvT1_S5_T2_lS5_lPKT0_lS6_lS5_l,comdat
.Lfunc_end7:
	.size	_ZN9rocsolver6v33100L17larf_right_kernelILi1024EfiPKPfEEvT1_S5_T2_lS5_lPKT0_lS6_lS5_l, .Lfunc_end7-_ZN9rocsolver6v33100L17larf_right_kernelILi1024EfiPKPfEEvT1_S5_T2_lS5_lPKT0_lS6_lS5_l
                                        ; -- End function
	.set _ZN9rocsolver6v33100L17larf_right_kernelILi1024EfiPKPfEEvT1_S5_T2_lS5_lPKT0_lS6_lS5_l.num_vgpr, 15
	.set _ZN9rocsolver6v33100L17larf_right_kernelILi1024EfiPKPfEEvT1_S5_T2_lS5_lPKT0_lS6_lS5_l.num_agpr, 0
	.set _ZN9rocsolver6v33100L17larf_right_kernelILi1024EfiPKPfEEvT1_S5_T2_lS5_lPKT0_lS6_lS5_l.numbered_sgpr, 28
	.set _ZN9rocsolver6v33100L17larf_right_kernelILi1024EfiPKPfEEvT1_S5_T2_lS5_lPKT0_lS6_lS5_l.num_named_barrier, 0
	.set _ZN9rocsolver6v33100L17larf_right_kernelILi1024EfiPKPfEEvT1_S5_T2_lS5_lPKT0_lS6_lS5_l.private_seg_size, 0
	.set _ZN9rocsolver6v33100L17larf_right_kernelILi1024EfiPKPfEEvT1_S5_T2_lS5_lPKT0_lS6_lS5_l.uses_vcc, 1
	.set _ZN9rocsolver6v33100L17larf_right_kernelILi1024EfiPKPfEEvT1_S5_T2_lS5_lPKT0_lS6_lS5_l.uses_flat_scratch, 0
	.set _ZN9rocsolver6v33100L17larf_right_kernelILi1024EfiPKPfEEvT1_S5_T2_lS5_lPKT0_lS6_lS5_l.has_dyn_sized_stack, 0
	.set _ZN9rocsolver6v33100L17larf_right_kernelILi1024EfiPKPfEEvT1_S5_T2_lS5_lPKT0_lS6_lS5_l.has_recursion, 0
	.set _ZN9rocsolver6v33100L17larf_right_kernelILi1024EfiPKPfEEvT1_S5_T2_lS5_lPKT0_lS6_lS5_l.has_indirect_call, 0
	.section	.AMDGPU.csdata,"",@progbits
; Kernel info:
; codeLenInByte = 1124
; TotalNumSgprs: 34
; NumVgprs: 15
; NumAgprs: 0
; TotalNumVgprs: 15
; ScratchSize: 0
; MemoryBound: 0
; FloatMode: 240
; IeeeMode: 1
; LDSByteSize: 0 bytes/workgroup (compile time only)
; SGPRBlocks: 4
; VGPRBlocks: 1
; NumSGPRsForWavesPerEU: 34
; NumVGPRsForWavesPerEU: 15
; AccumOffset: 16
; Occupancy: 8
; WaveLimiterHint : 0
; COMPUTE_PGM_RSRC2:SCRATCH_EN: 0
; COMPUTE_PGM_RSRC2:USER_SGPR: 2
; COMPUTE_PGM_RSRC2:TRAP_HANDLER: 0
; COMPUTE_PGM_RSRC2:TGID_X_EN: 1
; COMPUTE_PGM_RSRC2:TGID_Y_EN: 1
; COMPUTE_PGM_RSRC2:TGID_Z_EN: 1
; COMPUTE_PGM_RSRC2:TIDIG_COMP_CNT: 0
; COMPUTE_PGM_RSRC3_GFX90A:ACCUM_OFFSET: 3
; COMPUTE_PGM_RSRC3_GFX90A:TG_SPLIT: 0
	.section	.text._ZN9rocsolver6v33100L9get_arrayIfiEEvPPT_S3_lT0_,"axG",@progbits,_ZN9rocsolver6v33100L9get_arrayIfiEEvPPT_S3_lT0_,comdat
	.globl	_ZN9rocsolver6v33100L9get_arrayIfiEEvPPT_S3_lT0_ ; -- Begin function _ZN9rocsolver6v33100L9get_arrayIfiEEvPPT_S3_lT0_
	.p2align	8
	.type	_ZN9rocsolver6v33100L9get_arrayIfiEEvPPT_S3_lT0_,@function
_ZN9rocsolver6v33100L9get_arrayIfiEEvPPT_S3_lT0_: ; @_ZN9rocsolver6v33100L9get_arrayIfiEEvPPT_S3_lT0_
; %bb.0:
	s_load_dword s3, s[0:1], 0x2c
	s_load_dword s4, s[0:1], 0x18
	s_waitcnt lgkmcnt(0)
	s_and_b32 s3, s3, 0xffff
	s_mul_i32 s2, s2, s3
	v_add_u32_e32 v0, s2, v0
	v_cmp_gt_i32_e32 vcc, s4, v0
	s_and_saveexec_b64 s[2:3], vcc
	s_cbranch_execz .LBB8_2
; %bb.1:
	s_load_dwordx4 s[4:7], s[0:1], 0x0
	s_load_dwordx2 s[2:3], s[0:1], 0x10
	v_ashrrev_i32_e32 v1, 31, v0
	s_waitcnt lgkmcnt(0)
	v_mov_b32_e32 v2, s4
	v_mul_lo_u32 v8, s3, v0
	v_mul_lo_u32 v9, s2, v1
	v_mad_u64_u32 v[6:7], s[0:1], s2, v0, 0
	v_mov_b32_e32 v3, s5
	v_mov_b32_e32 v4, s6
	;; [unrolled: 1-line block ×3, first 2 shown]
	v_add3_u32 v7, v7, v9, v8
	v_lshl_add_u64 v[4:5], v[6:7], 2, v[4:5]
	v_lshl_add_u64 v[0:1], v[0:1], 3, v[2:3]
	global_store_dwordx2 v[0:1], v[4:5], off
.LBB8_2:
	s_endpgm
	.section	.rodata,"a",@progbits
	.p2align	6, 0x0
	.amdhsa_kernel _ZN9rocsolver6v33100L9get_arrayIfiEEvPPT_S3_lT0_
		.amdhsa_group_segment_fixed_size 0
		.amdhsa_private_segment_fixed_size 0
		.amdhsa_kernarg_size 288
		.amdhsa_user_sgpr_count 2
		.amdhsa_user_sgpr_dispatch_ptr 0
		.amdhsa_user_sgpr_queue_ptr 0
		.amdhsa_user_sgpr_kernarg_segment_ptr 1
		.amdhsa_user_sgpr_dispatch_id 0
		.amdhsa_user_sgpr_kernarg_preload_length 0
		.amdhsa_user_sgpr_kernarg_preload_offset 0
		.amdhsa_user_sgpr_private_segment_size 0
		.amdhsa_uses_dynamic_stack 0
		.amdhsa_enable_private_segment 0
		.amdhsa_system_sgpr_workgroup_id_x 1
		.amdhsa_system_sgpr_workgroup_id_y 0
		.amdhsa_system_sgpr_workgroup_id_z 0
		.amdhsa_system_sgpr_workgroup_info 0
		.amdhsa_system_vgpr_workitem_id 0
		.amdhsa_next_free_vgpr 10
		.amdhsa_next_free_sgpr 8
		.amdhsa_accum_offset 12
		.amdhsa_reserve_vcc 1
		.amdhsa_float_round_mode_32 0
		.amdhsa_float_round_mode_16_64 0
		.amdhsa_float_denorm_mode_32 3
		.amdhsa_float_denorm_mode_16_64 3
		.amdhsa_dx10_clamp 1
		.amdhsa_ieee_mode 1
		.amdhsa_fp16_overflow 0
		.amdhsa_tg_split 0
		.amdhsa_exception_fp_ieee_invalid_op 0
		.amdhsa_exception_fp_denorm_src 0
		.amdhsa_exception_fp_ieee_div_zero 0
		.amdhsa_exception_fp_ieee_overflow 0
		.amdhsa_exception_fp_ieee_underflow 0
		.amdhsa_exception_fp_ieee_inexact 0
		.amdhsa_exception_int_div_zero 0
	.end_amdhsa_kernel
	.section	.text._ZN9rocsolver6v33100L9get_arrayIfiEEvPPT_S3_lT0_,"axG",@progbits,_ZN9rocsolver6v33100L9get_arrayIfiEEvPPT_S3_lT0_,comdat
.Lfunc_end8:
	.size	_ZN9rocsolver6v33100L9get_arrayIfiEEvPPT_S3_lT0_, .Lfunc_end8-_ZN9rocsolver6v33100L9get_arrayIfiEEvPPT_S3_lT0_
                                        ; -- End function
	.set _ZN9rocsolver6v33100L9get_arrayIfiEEvPPT_S3_lT0_.num_vgpr, 10
	.set _ZN9rocsolver6v33100L9get_arrayIfiEEvPPT_S3_lT0_.num_agpr, 0
	.set _ZN9rocsolver6v33100L9get_arrayIfiEEvPPT_S3_lT0_.numbered_sgpr, 8
	.set _ZN9rocsolver6v33100L9get_arrayIfiEEvPPT_S3_lT0_.num_named_barrier, 0
	.set _ZN9rocsolver6v33100L9get_arrayIfiEEvPPT_S3_lT0_.private_seg_size, 0
	.set _ZN9rocsolver6v33100L9get_arrayIfiEEvPPT_S3_lT0_.uses_vcc, 1
	.set _ZN9rocsolver6v33100L9get_arrayIfiEEvPPT_S3_lT0_.uses_flat_scratch, 0
	.set _ZN9rocsolver6v33100L9get_arrayIfiEEvPPT_S3_lT0_.has_dyn_sized_stack, 0
	.set _ZN9rocsolver6v33100L9get_arrayIfiEEvPPT_S3_lT0_.has_recursion, 0
	.set _ZN9rocsolver6v33100L9get_arrayIfiEEvPPT_S3_lT0_.has_indirect_call, 0
	.section	.AMDGPU.csdata,"",@progbits
; Kernel info:
; codeLenInByte = 148
; TotalNumSgprs: 14
; NumVgprs: 10
; NumAgprs: 0
; TotalNumVgprs: 10
; ScratchSize: 0
; MemoryBound: 0
; FloatMode: 240
; IeeeMode: 1
; LDSByteSize: 0 bytes/workgroup (compile time only)
; SGPRBlocks: 1
; VGPRBlocks: 1
; NumSGPRsForWavesPerEU: 14
; NumVGPRsForWavesPerEU: 10
; AccumOffset: 12
; Occupancy: 8
; WaveLimiterHint : 0
; COMPUTE_PGM_RSRC2:SCRATCH_EN: 0
; COMPUTE_PGM_RSRC2:USER_SGPR: 2
; COMPUTE_PGM_RSRC2:TRAP_HANDLER: 0
; COMPUTE_PGM_RSRC2:TGID_X_EN: 1
; COMPUTE_PGM_RSRC2:TGID_Y_EN: 0
; COMPUTE_PGM_RSRC2:TGID_Z_EN: 0
; COMPUTE_PGM_RSRC2:TIDIG_COMP_CNT: 0
; COMPUTE_PGM_RSRC3_GFX90A:ACCUM_OFFSET: 2
; COMPUTE_PGM_RSRC3_GFX90A:TG_SPLIT: 0
	.section	.text._ZN9rocsolver6v33100L12restore_diagIfifPKPfEEvPT1_llT2_lT0_lS8_,"axG",@progbits,_ZN9rocsolver6v33100L12restore_diagIfifPKPfEEvPT1_llT2_lT0_lS8_,comdat
	.globl	_ZN9rocsolver6v33100L12restore_diagIfifPKPfEEvPT1_llT2_lT0_lS8_ ; -- Begin function _ZN9rocsolver6v33100L12restore_diagIfifPKPfEEvPT1_llT2_lT0_lS8_
	.p2align	8
	.type	_ZN9rocsolver6v33100L12restore_diagIfifPKPfEEvPT1_llT2_lT0_lS8_,@function
_ZN9rocsolver6v33100L12restore_diagIfifPKPfEEvPT1_llT2_lT0_lS8_: ; @_ZN9rocsolver6v33100L12restore_diagIfifPKPfEEvPT1_llT2_lT0_lS8_
; %bb.0:
	s_load_dword s4, s[0:1], 0x4c
	s_load_dword s5, s[0:1], 0x38
	v_bfe_u32 v0, v0, 10, 10
	s_waitcnt lgkmcnt(0)
	s_lshr_b32 s4, s4, 16
	s_mul_i32 s3, s3, s4
	v_add_u32_e32 v0, s3, v0
	v_cmp_gt_i32_e32 vcc, s5, v0
	s_and_saveexec_b64 s[4:5], vcc
	s_cbranch_execz .LBB9_2
; %bb.1:
	s_load_dwordx8 s[4:11], s[0:1], 0x0
	s_load_dwordx2 s[12:13], s[0:1], 0x20
	s_ashr_i32 s3, s2, 31
	s_lshl_b64 s[14:15], s[2:3], 3
	s_waitcnt lgkmcnt(0)
	s_add_u32 s10, s10, s14
	s_addc_u32 s11, s11, s15
	s_load_dwordx2 s[14:15], s[10:11], 0x0
	s_load_dword s16, s[0:1], 0x28
	s_lshl_b64 s[0:1], s[12:13], 2
	s_mul_hi_u32 s10, s8, s2
	s_mul_i32 s3, s8, s3
	s_waitcnt lgkmcnt(0)
	s_add_u32 s0, s14, s0
	s_addc_u32 s1, s15, s1
	s_add_i32 s3, s10, s3
	s_mul_i32 s9, s9, s2
	s_add_i32 s3, s3, s9
	s_mul_i32 s2, s8, s2
	s_lshl_b64 s[2:3], s[2:3], 2
	s_add_u32 s4, s4, s2
	s_addc_u32 s5, s5, s3
	s_lshl_b64 s[2:3], s[6:7], 2
	s_add_u32 s2, s4, s2
	s_addc_u32 s3, s5, s3
	v_mad_u64_u32 v[2:3], s[4:5], v0, s16, v[0:1]
	v_ashrrev_i32_e32 v1, 31, v0
	v_lshl_add_u64 v[0:1], v[0:1], 2, s[2:3]
	global_load_dword v4, v[0:1], off
	v_ashrrev_i32_e32 v3, 31, v2
	v_lshl_add_u64 v[0:1], v[2:3], 2, s[0:1]
	s_waitcnt vmcnt(0)
	flat_store_dword v[0:1], v4
.LBB9_2:
	s_endpgm
	.section	.rodata,"a",@progbits
	.p2align	6, 0x0
	.amdhsa_kernel _ZN9rocsolver6v33100L12restore_diagIfifPKPfEEvPT1_llT2_lT0_lS8_
		.amdhsa_group_segment_fixed_size 0
		.amdhsa_private_segment_fixed_size 0
		.amdhsa_kernarg_size 320
		.amdhsa_user_sgpr_count 2
		.amdhsa_user_sgpr_dispatch_ptr 0
		.amdhsa_user_sgpr_queue_ptr 0
		.amdhsa_user_sgpr_kernarg_segment_ptr 1
		.amdhsa_user_sgpr_dispatch_id 0
		.amdhsa_user_sgpr_kernarg_preload_length 0
		.amdhsa_user_sgpr_kernarg_preload_offset 0
		.amdhsa_user_sgpr_private_segment_size 0
		.amdhsa_uses_dynamic_stack 0
		.amdhsa_enable_private_segment 0
		.amdhsa_system_sgpr_workgroup_id_x 1
		.amdhsa_system_sgpr_workgroup_id_y 1
		.amdhsa_system_sgpr_workgroup_id_z 0
		.amdhsa_system_sgpr_workgroup_info 0
		.amdhsa_system_vgpr_workitem_id 1
		.amdhsa_next_free_vgpr 5
		.amdhsa_next_free_sgpr 17
		.amdhsa_accum_offset 8
		.amdhsa_reserve_vcc 1
		.amdhsa_float_round_mode_32 0
		.amdhsa_float_round_mode_16_64 0
		.amdhsa_float_denorm_mode_32 3
		.amdhsa_float_denorm_mode_16_64 3
		.amdhsa_dx10_clamp 1
		.amdhsa_ieee_mode 1
		.amdhsa_fp16_overflow 0
		.amdhsa_tg_split 0
		.amdhsa_exception_fp_ieee_invalid_op 0
		.amdhsa_exception_fp_denorm_src 0
		.amdhsa_exception_fp_ieee_div_zero 0
		.amdhsa_exception_fp_ieee_overflow 0
		.amdhsa_exception_fp_ieee_underflow 0
		.amdhsa_exception_fp_ieee_inexact 0
		.amdhsa_exception_int_div_zero 0
	.end_amdhsa_kernel
	.section	.text._ZN9rocsolver6v33100L12restore_diagIfifPKPfEEvPT1_llT2_lT0_lS8_,"axG",@progbits,_ZN9rocsolver6v33100L12restore_diagIfifPKPfEEvPT1_llT2_lT0_lS8_,comdat
.Lfunc_end9:
	.size	_ZN9rocsolver6v33100L12restore_diagIfifPKPfEEvPT1_llT2_lT0_lS8_, .Lfunc_end9-_ZN9rocsolver6v33100L12restore_diagIfifPKPfEEvPT1_llT2_lT0_lS8_
                                        ; -- End function
	.set _ZN9rocsolver6v33100L12restore_diagIfifPKPfEEvPT1_llT2_lT0_lS8_.num_vgpr, 5
	.set _ZN9rocsolver6v33100L12restore_diagIfifPKPfEEvPT1_llT2_lT0_lS8_.num_agpr, 0
	.set _ZN9rocsolver6v33100L12restore_diagIfifPKPfEEvPT1_llT2_lT0_lS8_.numbered_sgpr, 17
	.set _ZN9rocsolver6v33100L12restore_diagIfifPKPfEEvPT1_llT2_lT0_lS8_.num_named_barrier, 0
	.set _ZN9rocsolver6v33100L12restore_diagIfifPKPfEEvPT1_llT2_lT0_lS8_.private_seg_size, 0
	.set _ZN9rocsolver6v33100L12restore_diagIfifPKPfEEvPT1_llT2_lT0_lS8_.uses_vcc, 1
	.set _ZN9rocsolver6v33100L12restore_diagIfifPKPfEEvPT1_llT2_lT0_lS8_.uses_flat_scratch, 0
	.set _ZN9rocsolver6v33100L12restore_diagIfifPKPfEEvPT1_llT2_lT0_lS8_.has_dyn_sized_stack, 0
	.set _ZN9rocsolver6v33100L12restore_diagIfifPKPfEEvPT1_llT2_lT0_lS8_.has_recursion, 0
	.set _ZN9rocsolver6v33100L12restore_diagIfifPKPfEEvPT1_llT2_lT0_lS8_.has_indirect_call, 0
	.section	.AMDGPU.csdata,"",@progbits
; Kernel info:
; codeLenInByte = 224
; TotalNumSgprs: 23
; NumVgprs: 5
; NumAgprs: 0
; TotalNumVgprs: 5
; ScratchSize: 0
; MemoryBound: 0
; FloatMode: 240
; IeeeMode: 1
; LDSByteSize: 0 bytes/workgroup (compile time only)
; SGPRBlocks: 2
; VGPRBlocks: 0
; NumSGPRsForWavesPerEU: 23
; NumVGPRsForWavesPerEU: 5
; AccumOffset: 8
; Occupancy: 8
; WaveLimiterHint : 1
; COMPUTE_PGM_RSRC2:SCRATCH_EN: 0
; COMPUTE_PGM_RSRC2:USER_SGPR: 2
; COMPUTE_PGM_RSRC2:TRAP_HANDLER: 0
; COMPUTE_PGM_RSRC2:TGID_X_EN: 1
; COMPUTE_PGM_RSRC2:TGID_Y_EN: 1
; COMPUTE_PGM_RSRC2:TGID_Z_EN: 0
; COMPUTE_PGM_RSRC2:TIDIG_COMP_CNT: 1
; COMPUTE_PGM_RSRC3_GFX90A:ACCUM_OFFSET: 1
; COMPUTE_PGM_RSRC3_GFX90A:TG_SPLIT: 0
	.section	.text._ZN9rocsolver6v33100L6iota_nIdEEvPT_jS2_,"axG",@progbits,_ZN9rocsolver6v33100L6iota_nIdEEvPT_jS2_,comdat
	.globl	_ZN9rocsolver6v33100L6iota_nIdEEvPT_jS2_ ; -- Begin function _ZN9rocsolver6v33100L6iota_nIdEEvPT_jS2_
	.p2align	8
	.type	_ZN9rocsolver6v33100L6iota_nIdEEvPT_jS2_,@function
_ZN9rocsolver6v33100L6iota_nIdEEvPT_jS2_: ; @_ZN9rocsolver6v33100L6iota_nIdEEvPT_jS2_
; %bb.0:
	s_load_dword s2, s[0:1], 0x8
	s_waitcnt lgkmcnt(0)
	v_cmp_gt_u32_e32 vcc, s2, v0
	s_and_saveexec_b64 s[2:3], vcc
	s_cbranch_execz .LBB10_2
; %bb.1:
	s_load_dwordx2 s[2:3], s[0:1], 0x10
	s_load_dwordx2 s[4:5], s[0:1], 0x0
	v_lshlrev_b32_e32 v2, 3, v0
	v_cvt_f64_u32_e32 v[0:1], v0
	s_waitcnt lgkmcnt(0)
	v_add_f64 v[0:1], s[2:3], v[0:1]
	global_store_dwordx2 v2, v[0:1], s[4:5]
.LBB10_2:
	s_endpgm
	.section	.rodata,"a",@progbits
	.p2align	6, 0x0
	.amdhsa_kernel _ZN9rocsolver6v33100L6iota_nIdEEvPT_jS2_
		.amdhsa_group_segment_fixed_size 0
		.amdhsa_private_segment_fixed_size 0
		.amdhsa_kernarg_size 24
		.amdhsa_user_sgpr_count 2
		.amdhsa_user_sgpr_dispatch_ptr 0
		.amdhsa_user_sgpr_queue_ptr 0
		.amdhsa_user_sgpr_kernarg_segment_ptr 1
		.amdhsa_user_sgpr_dispatch_id 0
		.amdhsa_user_sgpr_kernarg_preload_length 0
		.amdhsa_user_sgpr_kernarg_preload_offset 0
		.amdhsa_user_sgpr_private_segment_size 0
		.amdhsa_uses_dynamic_stack 0
		.amdhsa_enable_private_segment 0
		.amdhsa_system_sgpr_workgroup_id_x 1
		.amdhsa_system_sgpr_workgroup_id_y 0
		.amdhsa_system_sgpr_workgroup_id_z 0
		.amdhsa_system_sgpr_workgroup_info 0
		.amdhsa_system_vgpr_workitem_id 0
		.amdhsa_next_free_vgpr 3
		.amdhsa_next_free_sgpr 6
		.amdhsa_accum_offset 4
		.amdhsa_reserve_vcc 1
		.amdhsa_float_round_mode_32 0
		.amdhsa_float_round_mode_16_64 0
		.amdhsa_float_denorm_mode_32 3
		.amdhsa_float_denorm_mode_16_64 3
		.amdhsa_dx10_clamp 1
		.amdhsa_ieee_mode 1
		.amdhsa_fp16_overflow 0
		.amdhsa_tg_split 0
		.amdhsa_exception_fp_ieee_invalid_op 0
		.amdhsa_exception_fp_denorm_src 0
		.amdhsa_exception_fp_ieee_div_zero 0
		.amdhsa_exception_fp_ieee_overflow 0
		.amdhsa_exception_fp_ieee_underflow 0
		.amdhsa_exception_fp_ieee_inexact 0
		.amdhsa_exception_int_div_zero 0
	.end_amdhsa_kernel
	.section	.text._ZN9rocsolver6v33100L6iota_nIdEEvPT_jS2_,"axG",@progbits,_ZN9rocsolver6v33100L6iota_nIdEEvPT_jS2_,comdat
.Lfunc_end10:
	.size	_ZN9rocsolver6v33100L6iota_nIdEEvPT_jS2_, .Lfunc_end10-_ZN9rocsolver6v33100L6iota_nIdEEvPT_jS2_
                                        ; -- End function
	.set _ZN9rocsolver6v33100L6iota_nIdEEvPT_jS2_.num_vgpr, 3
	.set _ZN9rocsolver6v33100L6iota_nIdEEvPT_jS2_.num_agpr, 0
	.set _ZN9rocsolver6v33100L6iota_nIdEEvPT_jS2_.numbered_sgpr, 6
	.set _ZN9rocsolver6v33100L6iota_nIdEEvPT_jS2_.num_named_barrier, 0
	.set _ZN9rocsolver6v33100L6iota_nIdEEvPT_jS2_.private_seg_size, 0
	.set _ZN9rocsolver6v33100L6iota_nIdEEvPT_jS2_.uses_vcc, 1
	.set _ZN9rocsolver6v33100L6iota_nIdEEvPT_jS2_.uses_flat_scratch, 0
	.set _ZN9rocsolver6v33100L6iota_nIdEEvPT_jS2_.has_dyn_sized_stack, 0
	.set _ZN9rocsolver6v33100L6iota_nIdEEvPT_jS2_.has_recursion, 0
	.set _ZN9rocsolver6v33100L6iota_nIdEEvPT_jS2_.has_indirect_call, 0
	.section	.AMDGPU.csdata,"",@progbits
; Kernel info:
; codeLenInByte = 72
; TotalNumSgprs: 12
; NumVgprs: 3
; NumAgprs: 0
; TotalNumVgprs: 3
; ScratchSize: 0
; MemoryBound: 0
; FloatMode: 240
; IeeeMode: 1
; LDSByteSize: 0 bytes/workgroup (compile time only)
; SGPRBlocks: 1
; VGPRBlocks: 0
; NumSGPRsForWavesPerEU: 12
; NumVGPRsForWavesPerEU: 3
; AccumOffset: 4
; Occupancy: 8
; WaveLimiterHint : 0
; COMPUTE_PGM_RSRC2:SCRATCH_EN: 0
; COMPUTE_PGM_RSRC2:USER_SGPR: 2
; COMPUTE_PGM_RSRC2:TRAP_HANDLER: 0
; COMPUTE_PGM_RSRC2:TGID_X_EN: 1
; COMPUTE_PGM_RSRC2:TGID_Y_EN: 0
; COMPUTE_PGM_RSRC2:TGID_Z_EN: 0
; COMPUTE_PGM_RSRC2:TIDIG_COMP_CNT: 0
; COMPUTE_PGM_RSRC3_GFX90A:ACCUM_OFFSET: 0
; COMPUTE_PGM_RSRC3_GFX90A:TG_SPLIT: 0
	.section	.text._ZN9rocsolver6v33100L18geqr2_kernel_smallILi256EdidPKPdEEvT1_S5_T3_lS5_lPT2_lPT0_l,"axG",@progbits,_ZN9rocsolver6v33100L18geqr2_kernel_smallILi256EdidPKPdEEvT1_S5_T3_lS5_lPT2_lPT0_l,comdat
	.globl	_ZN9rocsolver6v33100L18geqr2_kernel_smallILi256EdidPKPdEEvT1_S5_T3_lS5_lPT2_lPT0_l ; -- Begin function _ZN9rocsolver6v33100L18geqr2_kernel_smallILi256EdidPKPdEEvT1_S5_T3_lS5_lPT2_lPT0_l
	.p2align	8
	.type	_ZN9rocsolver6v33100L18geqr2_kernel_smallILi256EdidPKPdEEvT1_S5_T3_lS5_lPT2_lPT0_l,@function
_ZN9rocsolver6v33100L18geqr2_kernel_smallILi256EdidPKPdEEvT1_S5_T3_lS5_lPT2_lPT0_l: ; @_ZN9rocsolver6v33100L18geqr2_kernel_smallILi256EdidPKPdEEvT1_S5_T3_lS5_lPT2_lPT0_l
; %bb.0:
	s_load_dwordx4 s[12:15], s[0:1], 0x8
	s_mov_b32 s4, s3
	s_ashr_i32 s5, s3, 31
	s_lshl_b64 s[2:3], s[4:5], 3
	v_and_b32_e32 v2, 0x7f, v0
	s_waitcnt lgkmcnt(0)
	s_add_u32 s2, s12, s2
	s_addc_u32 s3, s13, s3
	s_load_dwordx2 s[6:7], s[2:3], 0x0
	s_load_dwordx2 s[10:11], s[0:1], 0x0
	s_load_dword s28, s[0:1], 0x18
	s_lshl_b64 s[2:3], s[14:15], 3
	v_lshrrev_b32_e32 v3, 7, v0
	s_waitcnt lgkmcnt(0)
	s_add_u32 s20, s6, s2
	s_addc_u32 s21, s7, s3
	v_cmp_gt_i32_e64 s[8:9], s10, v2
	v_lshlrev_b32_e32 v12, 3, v2
	s_and_saveexec_b64 s[6:7], s[8:9]
	s_cbranch_execz .LBB11_6
; %bb.1:
	v_lshrrev_b32_e32 v1, 7, v0
	v_mul_lo_u32 v4, s10, v1
	v_lshlrev_b32_e32 v4, 3, v4
	v_add3_u32 v8, v4, v12, 0
	v_mad_u64_u32 v[4:5], s[2:3], s28, v1, v[2:3]
	v_cmp_gt_i32_e32 vcc, s11, v1
	s_lshl_b32 s18, s10, 4
	s_lshl_b32 s19, s28, 1
	s_mov_b64 s[12:13], 0
	v_mov_b32_e32 v5, v2
	s_branch .LBB11_3
.LBB11_2:                               ;   in Loop: Header=BB11_3 Depth=1
	s_or_b64 exec, exec, s[14:15]
	v_add_u32_e32 v5, 0x80, v5
	v_cmp_le_i32_e64 s[2:3], s10, v5
	v_add_u32_e32 v8, 0x400, v8
	s_or_b64 s[12:13], s[2:3], s[12:13]
	v_add_u32_e32 v4, 0x80, v4
	s_andn2_b64 exec, exec, s[12:13]
	s_cbranch_execz .LBB11_6
.LBB11_3:                               ; =>This Loop Header: Depth=1
                                        ;     Child Loop BB11_5 Depth 2
	s_and_saveexec_b64 s[14:15], vcc
	s_cbranch_execz .LBB11_2
; %bb.4:                                ;   in Loop: Header=BB11_3 Depth=1
	s_mov_b64 s[16:17], 0
	v_mov_b32_e32 v6, v4
	v_mov_b32_e32 v9, v8
	;; [unrolled: 1-line block ×3, first 2 shown]
.LBB11_5:                               ;   Parent Loop BB11_3 Depth=1
                                        ; =>  This Inner Loop Header: Depth=2
	v_ashrrev_i32_e32 v7, 31, v6
	v_lshl_add_u64 v[14:15], v[6:7], 3, s[20:21]
	flat_load_dwordx2 v[14:15], v[14:15]
	v_add_u32_e32 v10, 2, v10
	v_cmp_le_i32_e64 s[2:3], s11, v10
	v_add_u32_e32 v6, s19, v6
	s_or_b64 s[16:17], s[2:3], s[16:17]
	s_waitcnt vmcnt(0) lgkmcnt(0)
	ds_write_b64 v9, v[14:15]
	v_add_u32_e32 v9, s18, v9
	s_andn2_b64 exec, exec, s[16:17]
	s_cbranch_execnz .LBB11_5
	s_branch .LBB11_2
.LBB11_6:
	s_or_b64 exec, exec, s[6:7]
	s_min_i32 s29, s11, s10
	s_cmp_lt_i32 s29, 1
	s_waitcnt lgkmcnt(0)
	s_barrier
	s_cbranch_scc1 .LBB11_43
; %bb.7:
	s_load_dwordx8 s[12:19], s[0:1], 0x28
	v_mbcnt_lo_u32_b32 v1, -1, 0
	v_mbcnt_hi_u32_b32 v4, -1, v1
	v_and_b32_e32 v5, 63, v4
	v_cmp_ne_u32_e32 vcc, 63, v5
	s_waitcnt lgkmcnt(0)
	s_mul_i32 s1, s14, s5
	s_mul_hi_u32 s2, s14, s4
	s_mul_i32 s3, s15, s4
	s_add_i32 s1, s2, s1
	s_mul_i32 s0, s14, s4
	s_add_i32 s1, s1, s3
	s_lshl_b64 s[0:1], s[0:1], 3
	s_mul_i32 s5, s18, s5
	s_add_u32 s30, s12, s0
	s_mul_hi_u32 s0, s18, s4
	s_addc_u32 s31, s13, s1
	s_add_i32 s0, s0, s5
	s_mul_i32 s1, s19, s4
	s_add_i32 s1, s0, s1
	s_mul_i32 s0, s18, s4
	v_addc_co_u32_e32 v1, vcc, 0, v4, vcc
	s_lshl_b64 s[0:1], s[0:1], 3
	v_cmp_gt_u32_e32 vcc, 62, v5
	s_add_u32 s33, s16, s0
	s_mul_i32 s0, s11, s10
	v_cndmask_b32_e64 v6, 0, 2, vcc
	v_cmp_gt_u32_e32 vcc, 60, v5
	s_addc_u32 s34, s17, s1
	s_lshl_b32 s0, s0, 3
	v_add_lshl_u32 v13, v6, v4, 2
	v_cndmask_b32_e64 v6, 0, 4, vcc
	v_cmp_gt_u32_e32 vcc, 56, v5
	s_add_i32 s35, s0, 0
	s_lshl_b32 s0, s11, 3
	v_add_lshl_u32 v14, v6, v4, 2
	v_cndmask_b32_e64 v6, 0, 8, vcc
	v_cmp_gt_u32_e32 vcc, 48, v5
	s_add_i32 s36, s35, s0
	s_cmp_eq_u64 s[12:13], 0
	v_cndmask_b32_e64 v5, 0, 16, vcc
	v_add_lshl_u32 v16, v5, v4, 2
	v_mov_b32_e32 v5, 0x80
	v_add_lshl_u32 v15, v6, v4, 2
	v_lshl_or_b32 v17, v4, 2, v5
	v_and_b32_e32 v4, 63, v0
	s_cselect_b64 s[14:15], -1, 0
	s_cmp_lg_u64 s[12:13], 0
	v_cmp_eq_u32_e64 s[2:3], 0, v4
	s_cselect_b64 s[12:13], -1, 0
	s_lshl_b32 s37, s10, 3
	v_mul_lo_u32 v4, s10, v0
	s_mov_b32 s1, 0
	v_lshrrev_b32_e32 v5, 3, v0
	v_lshlrev_b32_e32 v6, 3, v0
	v_add_u32_e32 v7, s10, v4
	v_mov_b32_e32 v4, 0
	s_add_i32 s0, s37, 0
	s_mov_b32 s16, 0
	v_lshlrev_b32_e32 v1, 2, v1
	v_cmp_eq_u32_e64 s[4:5], 0, v0
	v_add3_u32 v18, v6, 0, 8
	s_add_i32 s38, s37, 8
	v_lshl_add_u32 v19, v7, 3, 0
	s_lshl_b32 s39, s10, 11
	v_add_u32_e32 v20, s0, v6
	v_add_u32_e32 v21, s36, v5
	v_mov_b32_e32 v5, v4
	s_brev_b32 s17, 8
	v_mov_b32_e32 v22, 0x260
	v_mov_b32_e32 v23, 0x100
	v_mov_b32_e32 v24, 0xffffff80
	s_mov_b32 s40, 0
	s_mov_b32 s41, s11
	s_mov_b32 s42, s10
	s_mov_b32 s0, s1
	s_branch .LBB11_9
.LBB11_8:                               ;   in Loop: Header=BB11_9 Depth=1
	s_or_b64 exec, exec, s[6:7]
	s_add_i32 s41, s41, -1
	s_add_i32 s0, s0, 1
	s_add_i32 s42, s42, -1
	s_add_i32 s40, s40, s38
	v_add_u32_e32 v18, s38, v18
	v_add_u32_e32 v19, s38, v19
	s_cmp_eq_u32 s0, s29
	v_add_u32_e32 v20, s38, v20
	s_waitcnt lgkmcnt(0)
	s_barrier
	s_cbranch_scc1 .LBB11_43
.LBB11_9:                               ; =>This Loop Header: Depth=1
                                        ;     Child Loop BB11_11 Depth 2
                                        ;     Child Loop BB11_24 Depth 2
	;; [unrolled: 1-line block ×3, first 2 shown]
                                        ;       Child Loop BB11_30 Depth 3
                                        ;     Child Loop BB11_34 Depth 2
                                        ;       Child Loop BB11_36 Depth 3
	s_sub_i32 s43, s10, s0
	s_add_i32 s45, s43, -1
	v_cmp_gt_i32_e64 s[6:7], s45, v0
	v_mov_b64_e32 v[6:7], 0
	s_and_saveexec_b64 s[18:19], s[6:7]
	s_cbranch_execz .LBB11_13
; %bb.10:                               ;   in Loop: Header=BB11_9 Depth=1
	v_mov_b64_e32 v[6:7], 0
	s_mov_b64 s[22:23], 0
	v_mov_b32_e32 v8, v18
	v_mov_b32_e32 v9, v0
.LBB11_11:                              ;   Parent Loop BB11_9 Depth=1
                                        ; =>  This Inner Loop Header: Depth=2
	ds_read_b64 v[10:11], v8
	v_add_u32_e32 v9, 0x100, v9
	v_cmp_le_i32_e32 vcc, s45, v9
	v_add_u32_e32 v8, 0x800, v8
	s_or_b64 s[22:23], vcc, s[22:23]
	s_waitcnt lgkmcnt(0)
	v_fmac_f64_e32 v[6:7], v[10:11], v[10:11]
	s_andn2_b64 exec, exec, s[22:23]
	s_cbranch_execnz .LBB11_11
; %bb.12:                               ;   in Loop: Header=BB11_9 Depth=1
	s_or_b64 exec, exec, s[22:23]
.LBB11_13:                              ;   in Loop: Header=BB11_9 Depth=1
	s_or_b64 exec, exec, s[18:19]
	ds_bpermute_b32 v8, v1, v6
	ds_bpermute_b32 v9, v1, v7
	s_waitcnt lgkmcnt(0)
	v_add_f64 v[6:7], v[6:7], v[8:9]
	ds_bpermute_b32 v8, v13, v6
	ds_bpermute_b32 v9, v13, v7
	s_waitcnt lgkmcnt(0)
	v_add_f64 v[6:7], v[6:7], v[8:9]
	;; [unrolled: 4-line block ×6, first 2 shown]
	s_and_saveexec_b64 s[18:19], s[2:3]
; %bb.14:                               ;   in Loop: Header=BB11_9 Depth=1
	ds_write_b64 v21, v[6:7] offset:8
; %bb.15:                               ;   in Loop: Header=BB11_9 Depth=1
	s_or_b64 exec, exec, s[18:19]
	s_lshl_b32 s18, s0, 3
	s_add_i32 s44, s18, 0
	s_mul_i32 s18, s0, s10
	s_lshl_b32 s18, s18, 3
	s_add_i32 s44, s44, s18
	s_waitcnt lgkmcnt(0)
	s_barrier
	s_and_saveexec_b64 s[18:19], s[4:5]
	s_cbranch_execz .LBB11_22
; %bb.16:                               ;   in Loop: Header=BB11_9 Depth=1
	v_mov_b32_e32 v25, s36
	ds_read2_b64 v[8:11], v25 offset0:2 offset1:3
	ds_read_b64 v[26:27], v25 offset:32
	s_mov_b64 s[26:27], 0
	s_mov_b64 s[22:23], 0
	s_waitcnt lgkmcnt(1)
	v_add_f64 v[6:7], v[6:7], v[8:9]
	v_add_f64 v[6:7], v[6:7], v[10:11]
	s_waitcnt lgkmcnt(0)
	v_add_f64 v[10:11], v[6:7], v[26:27]
	v_cmp_nlt_f64_e32 vcc, 0, v[10:11]
                                        ; implicit-def: $vgpr6_vgpr7
	s_and_saveexec_b64 s[24:25], vcc
	s_xor_b64 s[24:25], exec, s[24:25]
	s_cbranch_execnz .LBB11_37
; %bb.17:                               ;   in Loop: Header=BB11_9 Depth=1
	s_or_saveexec_b64 s[24:25], s[24:25]
	v_mov_b64_e32 v[8:9], 1.0
	s_xor_b64 exec, exec, s[24:25]
	s_cbranch_execnz .LBB11_41
.LBB11_18:                              ;   in Loop: Header=BB11_9 Depth=1
	s_or_b64 exec, exec, s[24:25]
	s_and_saveexec_b64 s[24:25], s[22:23]
	s_cbranch_execnz .LBB11_42
.LBB11_19:                              ;   in Loop: Header=BB11_9 Depth=1
	s_or_b64 exec, exec, s[24:25]
	v_mov_b64_e32 v[10:11], 0
	s_and_saveexec_b64 s[22:23], s[26:27]
	s_cbranch_execz .LBB11_21
.LBB11_20:                              ;   in Loop: Header=BB11_9 Depth=1
	v_mov_b32_e32 v10, s44
	s_waitcnt lgkmcnt(0)
	ds_write_b64 v10, v[6:7]
	v_mov_b32_e32 v6, s36
	ds_read_b64 v[10:11], v6
.LBB11_21:                              ;   in Loop: Header=BB11_9 Depth=1
	s_or_b64 exec, exec, s[22:23]
	s_lshl_b64 s[22:23], s[0:1], 3
	s_add_u32 s22, s33, s22
	s_addc_u32 s23, s34, s23
	s_waitcnt lgkmcnt(0)
	v_mov_b32_e32 v6, s36
	global_store_dwordx2 v4, v[10:11], s[22:23]
	ds_write_b64 v6, v[8:9] offset:8
.LBB11_22:                              ;   in Loop: Header=BB11_9 Depth=1
	s_or_b64 exec, exec, s[18:19]
	s_waitcnt lgkmcnt(0)
	s_barrier
	s_and_saveexec_b64 s[18:19], s[6:7]
	s_cbranch_execz .LBB11_25
; %bb.23:                               ;   in Loop: Header=BB11_9 Depth=1
	s_mov_b32 s22, 0
	s_mov_b64 s[6:7], 0
	v_mov_b32_e32 v6, v0
.LBB11_24:                              ;   Parent Loop BB11_9 Depth=1
                                        ; =>  This Inner Loop Header: Depth=2
	v_mov_b32_e32 v7, s36
	v_add_u32_e32 v25, s22, v18
	ds_read_b64 v[8:9], v7 offset:8
	ds_read_b64 v[10:11], v25
	v_add_u32_e32 v6, 0x100, v6
	s_addk_i32 s22, 0x800
	v_cmp_le_i32_e32 vcc, s45, v6
	s_or_b64 s[6:7], vcc, s[6:7]
	s_waitcnt lgkmcnt(0)
	v_mul_f64 v[8:9], v[8:9], v[10:11]
	ds_write_b64 v25, v[8:9]
	s_andn2_b64 exec, exec, s[6:7]
	s_cbranch_execnz .LBB11_24
.LBB11_25:                              ;   in Loop: Header=BB11_9 Depth=1
	s_or_b64 exec, exec, s[18:19]
	s_not_b32 s6, s0
	s_add_i32 s24, s11, s6
	v_cmp_gt_i32_e32 vcc, s24, v0
	s_waitcnt lgkmcnt(0)
	s_barrier
	s_and_saveexec_b64 s[6:7], vcc
	s_cbranch_execz .LBB11_31
; %bb.26:                               ;   in Loop: Header=BB11_9 Depth=1
	s_cmp_gt_i32 s43, 0
	s_mov_b64 s[18:19], 0
	s_cselect_b64 s[22:23], -1, 0
	v_mov_b32_e32 v8, v19
	v_mov_b32_e32 v9, v0
	s_branch .LBB11_28
.LBB11_27:                              ;   in Loop: Header=BB11_28 Depth=2
	v_mov_b32_e32 v10, s36
	ds_read_b64 v[10:11], v10
	v_lshl_add_u32 v25, v9, 3, s35
	v_add_u32_e32 v9, 0x100, v9
	v_cmp_le_i32_e32 vcc, s24, v9
	s_or_b64 s[18:19], vcc, s[18:19]
	s_waitcnt lgkmcnt(0)
	v_mul_f64 v[6:7], v[6:7], v[10:11]
	v_add_u32_e32 v8, s39, v8
	ds_write_b64 v25, v[6:7]
	s_andn2_b64 exec, exec, s[18:19]
	s_cbranch_execz .LBB11_31
.LBB11_28:                              ;   Parent Loop BB11_9 Depth=1
                                        ; =>  This Loop Header: Depth=2
                                        ;       Child Loop BB11_30 Depth 3
	v_mov_b64_e32 v[6:7], 0
	s_andn2_b64 vcc, exec, s[22:23]
	s_cbranch_vccnz .LBB11_27
; %bb.29:                               ;   in Loop: Header=BB11_28 Depth=2
	s_mov_b32 s25, s40
	s_mov_b32 s26, s42
	v_mov_b32_e32 v10, v8
.LBB11_30:                              ;   Parent Loop BB11_9 Depth=1
                                        ;     Parent Loop BB11_28 Depth=2
                                        ; =>    This Inner Loop Header: Depth=3
	v_mov_b32_e32 v11, s25
	ds_read_b64 v[26:27], v10
	ds_read_b64 v[28:29], v11
	s_add_i32 s26, s26, -1
	s_add_i32 s25, s25, 8
	v_add_u32_e32 v10, 8, v10
	s_cmp_eq_u32 s26, 0
	s_waitcnt lgkmcnt(0)
	v_fmac_f64_e32 v[6:7], v[26:27], v[28:29]
	s_cbranch_scc0 .LBB11_30
	s_branch .LBB11_27
.LBB11_31:                              ;   in Loop: Header=BB11_9 Depth=1
	s_or_b64 exec, exec, s[6:7]
	v_cmp_gt_i32_e32 vcc, s43, v0
	s_waitcnt lgkmcnt(0)
	s_barrier
	s_and_saveexec_b64 s[6:7], vcc
	s_cbranch_execz .LBB11_8
; %bb.32:                               ;   in Loop: Header=BB11_9 Depth=1
	s_cmp_gt_i32 s24, 0
	s_mov_b64 s[18:19], 0
	s_cselect_b64 s[22:23], -1, 0
	v_mov_b32_e32 v6, v20
	v_mov_b32_e32 v7, v0
	s_branch .LBB11_34
.LBB11_33:                              ;   in Loop: Header=BB11_34 Depth=2
	v_add_u32_e32 v7, 0x100, v7
	v_cmp_le_i32_e32 vcc, s43, v7
	s_or_b64 s[18:19], vcc, s[18:19]
	v_add_u32_e32 v6, 0x800, v6
	s_andn2_b64 exec, exec, s[18:19]
	s_cbranch_execz .LBB11_8
.LBB11_34:                              ;   Parent Loop BB11_9 Depth=1
                                        ; =>  This Loop Header: Depth=2
                                        ;       Child Loop BB11_36 Depth 3
	s_andn2_b64 vcc, exec, s[22:23]
	s_cbranch_vccnz .LBB11_33
; %bb.35:                               ;   in Loop: Header=BB11_34 Depth=2
	v_lshl_add_u32 v8, v7, 3, s44
	s_mov_b32 s24, 1
	s_mov_b32 s25, s35
	v_mov_b32_e32 v9, v6
.LBB11_36:                              ;   Parent Loop BB11_9 Depth=1
                                        ;     Parent Loop BB11_34 Depth=2
                                        ; =>    This Inner Loop Header: Depth=3
	v_mov_b32_e32 v25, s25
	ds_read_b64 v[10:11], v9
	ds_read_b64 v[26:27], v8
	ds_read_b64 v[28:29], v25
	s_add_i32 s24, s24, 1
	s_add_i32 s25, s25, 8
	s_cmp_eq_u32 s41, s24
	s_waitcnt lgkmcnt(0)
	v_fma_f64 v[10:11], -v[26:27], v[28:29], v[10:11]
	ds_write_b64 v9, v[10:11]
	v_add_u32_e32 v9, s37, v9
	s_cbranch_scc0 .LBB11_36
	s_branch .LBB11_33
.LBB11_37:                              ;   in Loop: Header=BB11_9 Depth=1
	v_mov_b32_e32 v6, s36
	s_and_b64 vcc, exec, s[12:13]
	ds_write_b64 v6, v[4:5]
	s_cbranch_vccz .LBB11_39
; %bb.38:                               ;   in Loop: Header=BB11_9 Depth=1
	v_mov_b32_e32 v6, s44
	ds_read_b64 v[6:7], v6
	s_mov_b64 s[22:23], -1
	s_branch .LBB11_40
.LBB11_39:                              ;   in Loop: Header=BB11_9 Depth=1
                                        ; implicit-def: $vgpr6_vgpr7
.LBB11_40:                              ;   in Loop: Header=BB11_9 Depth=1
	s_and_b64 s[22:23], s[22:23], exec
                                        ; implicit-def: $vgpr10_vgpr11
	s_or_saveexec_b64 s[24:25], s[24:25]
	v_mov_b64_e32 v[8:9], 1.0
	s_xor_b64 exec, exec, s[24:25]
	s_cbranch_execz .LBB11_18
.LBB11_41:                              ;   in Loop: Header=BB11_9 Depth=1
	s_waitcnt lgkmcnt(0)
	v_mov_b32_e32 v6, s44
	ds_read_b64 v[8:9], v6
	s_andn2_b64 s[22:23], s[22:23], exec
	s_and_b64 s[46:47], s[12:13], exec
	s_or_b64 s[22:23], s[22:23], s[46:47]
	s_waitcnt lgkmcnt(0)
	v_fmac_f64_e32 v[10:11], v[8:9], v[8:9]
	v_cmp_gt_f64_e32 vcc, s[16:17], v[10:11]
	s_nop 1
	v_cndmask_b32_e32 v6, 0, v23, vcc
	v_ldexp_f64 v[6:7], v[10:11], v6
	v_rsq_f64_e32 v[10:11], v[6:7]
	v_cndmask_b32_e32 v25, 0, v24, vcc
	v_cmp_class_f64_e32 vcc, v[6:7], v22
	v_mul_f64 v[26:27], v[6:7], v[10:11]
	v_mul_f64 v[10:11], v[10:11], 0.5
	v_fma_f64 v[28:29], -v[10:11], v[26:27], 0.5
	v_fmac_f64_e32 v[26:27], v[26:27], v[28:29]
	v_fmac_f64_e32 v[10:11], v[10:11], v[28:29]
	v_fma_f64 v[28:29], -v[26:27], v[26:27], v[6:7]
	v_fmac_f64_e32 v[26:27], v[28:29], v[10:11]
	v_fma_f64 v[28:29], -v[26:27], v[26:27], v[6:7]
	v_fmac_f64_e32 v[26:27], v[28:29], v[10:11]
	v_ldexp_f64 v[10:11], v[26:27], v25
	v_cndmask_b32_e32 v7, v11, v7, vcc
	v_cndmask_b32_e32 v6, v10, v6, vcc
	v_xor_b32_e32 v10, 0x80000000, v7
	v_cmp_le_f64_e32 vcc, 0, v[8:9]
	v_mov_b32_e32 v25, s36
	s_nop 0
	v_cndmask_b32_e32 v7, v7, v10, vcc
	v_add_f64 v[10:11], v[8:9], -v[6:7]
	v_div_scale_f64 v[26:27], s[26:27], v[10:11], v[10:11], 1.0
	v_rcp_f64_e32 v[28:29], v[26:27]
	v_div_scale_f64 v[30:31], vcc, 1.0, v[10:11], 1.0
	v_fma_f64 v[32:33], -v[26:27], v[28:29], 1.0
	v_fmac_f64_e32 v[28:29], v[28:29], v[32:33]
	v_fma_f64 v[32:33], -v[26:27], v[28:29], 1.0
	v_fmac_f64_e32 v[28:29], v[28:29], v[32:33]
	v_mul_f64 v[32:33], v[30:31], v[28:29]
	v_fma_f64 v[26:27], -v[26:27], v[32:33], v[30:31]
	v_add_f64 v[30:31], v[6:7], -v[8:9]
	v_div_scale_f64 v[34:35], s[26:27], v[6:7], v[6:7], v[30:31]
	v_rcp_f64_e32 v[36:37], v[34:35]
	v_div_fmas_f64 v[8:9], v[26:27], v[28:29], v[32:33]
	v_div_fixup_f64 v[8:9], v[8:9], v[10:11], 1.0
	s_and_b64 s[26:27], s[14:15], exec
	v_fma_f64 v[10:11], -v[34:35], v[36:37], 1.0
	v_fmac_f64_e32 v[36:37], v[36:37], v[10:11]
	v_fma_f64 v[10:11], -v[34:35], v[36:37], 1.0
	v_fmac_f64_e32 v[36:37], v[36:37], v[10:11]
	v_div_scale_f64 v[10:11], vcc, v[30:31], v[6:7], v[30:31]
	v_mul_f64 v[26:27], v[10:11], v[36:37]
	v_fma_f64 v[10:11], -v[34:35], v[26:27], v[10:11]
	s_nop 1
	v_div_fmas_f64 v[10:11], v[10:11], v[36:37], v[26:27]
	v_div_fixup_f64 v[10:11], v[10:11], v[6:7], v[30:31]
	ds_write_b64 v25, v[10:11]
	s_or_b64 exec, exec, s[24:25]
	s_and_saveexec_b64 s[24:25], s[22:23]
	s_cbranch_execz .LBB11_19
.LBB11_42:                              ;   in Loop: Header=BB11_9 Depth=1
	s_lshl_b64 s[22:23], s[0:1], 3
	s_add_u32 s22, s30, s22
	s_addc_u32 s23, s31, s23
	s_waitcnt lgkmcnt(0)
	global_store_dwordx2 v4, v[6:7], s[22:23]
	v_mov_b64_e32 v[6:7], 1.0
	s_or_b64 s[26:27], s[26:27], exec
	s_or_b64 exec, exec, s[24:25]
	v_mov_b64_e32 v[10:11], 0
	s_and_saveexec_b64 s[22:23], s[26:27]
	s_cbranch_execnz .LBB11_20
	s_branch .LBB11_21
.LBB11_43:
	s_and_saveexec_b64 s[0:1], s[8:9]
	s_cbranch_execz .LBB11_49
; %bb.44:
	v_mad_u64_u32 v[0:1], s[0:1], s28, v3, v[2:3]
	v_mul_lo_u32 v1, s10, v3
	v_lshlrev_b32_e32 v1, 3, v1
	v_cmp_gt_i32_e32 vcc, s11, v3
	s_lshl_b32 s8, s28, 1
	v_add3_u32 v1, v1, v12, 0
	s_lshl_b32 s9, s10, 4
	s_mov_b64 s[2:3], 0
	s_branch .LBB11_46
.LBB11_45:                              ;   in Loop: Header=BB11_46 Depth=1
	s_or_b64 exec, exec, s[4:5]
	v_add_u32_e32 v2, 0x80, v2
	v_cmp_le_i32_e64 s[0:1], s10, v2
	v_add_u32_e32 v0, 0x80, v0
	s_or_b64 s[2:3], s[0:1], s[2:3]
	v_add_u32_e32 v1, 0x400, v1
	s_andn2_b64 exec, exec, s[2:3]
	s_cbranch_execz .LBB11_49
.LBB11_46:                              ; =>This Loop Header: Depth=1
                                        ;     Child Loop BB11_48 Depth 2
	s_and_saveexec_b64 s[4:5], vcc
	s_cbranch_execz .LBB11_45
; %bb.47:                               ;   in Loop: Header=BB11_46 Depth=1
	s_mov_b64 s[6:7], 0
	v_mov_b32_e32 v6, v1
	v_mov_b32_e32 v4, v0
	;; [unrolled: 1-line block ×3, first 2 shown]
.LBB11_48:                              ;   Parent Loop BB11_46 Depth=1
                                        ; =>  This Inner Loop Header: Depth=2
	ds_read_b64 v[8:9], v6
	v_add_u32_e32 v7, 2, v7
	v_ashrrev_i32_e32 v5, 31, v4
	v_cmp_le_i32_e64 s[0:1], s11, v7
	v_add_u32_e32 v6, s9, v6
	v_lshl_add_u64 v[10:11], v[4:5], 3, s[20:21]
	v_add_u32_e32 v4, s8, v4
	s_or_b64 s[6:7], s[0:1], s[6:7]
	s_waitcnt lgkmcnt(0)
	flat_store_dwordx2 v[10:11], v[8:9]
	s_andn2_b64 exec, exec, s[6:7]
	s_cbranch_execnz .LBB11_48
	s_branch .LBB11_45
.LBB11_49:
	s_endpgm
	.section	.rodata,"a",@progbits
	.p2align	6, 0x0
	.amdhsa_kernel _ZN9rocsolver6v33100L18geqr2_kernel_smallILi256EdidPKPdEEvT1_S5_T3_lS5_lPT2_lPT0_l
		.amdhsa_group_segment_fixed_size 0
		.amdhsa_private_segment_fixed_size 0
		.amdhsa_kernarg_size 72
		.amdhsa_user_sgpr_count 2
		.amdhsa_user_sgpr_dispatch_ptr 0
		.amdhsa_user_sgpr_queue_ptr 0
		.amdhsa_user_sgpr_kernarg_segment_ptr 1
		.amdhsa_user_sgpr_dispatch_id 0
		.amdhsa_user_sgpr_kernarg_preload_length 0
		.amdhsa_user_sgpr_kernarg_preload_offset 0
		.amdhsa_user_sgpr_private_segment_size 0
		.amdhsa_uses_dynamic_stack 0
		.amdhsa_enable_private_segment 0
		.amdhsa_system_sgpr_workgroup_id_x 1
		.amdhsa_system_sgpr_workgroup_id_y 0
		.amdhsa_system_sgpr_workgroup_id_z 1
		.amdhsa_system_sgpr_workgroup_info 0
		.amdhsa_system_vgpr_workitem_id 0
		.amdhsa_next_free_vgpr 38
		.amdhsa_next_free_sgpr 48
		.amdhsa_accum_offset 40
		.amdhsa_reserve_vcc 1
		.amdhsa_float_round_mode_32 0
		.amdhsa_float_round_mode_16_64 0
		.amdhsa_float_denorm_mode_32 3
		.amdhsa_float_denorm_mode_16_64 3
		.amdhsa_dx10_clamp 1
		.amdhsa_ieee_mode 1
		.amdhsa_fp16_overflow 0
		.amdhsa_tg_split 0
		.amdhsa_exception_fp_ieee_invalid_op 0
		.amdhsa_exception_fp_denorm_src 0
		.amdhsa_exception_fp_ieee_div_zero 0
		.amdhsa_exception_fp_ieee_overflow 0
		.amdhsa_exception_fp_ieee_underflow 0
		.amdhsa_exception_fp_ieee_inexact 0
		.amdhsa_exception_int_div_zero 0
	.end_amdhsa_kernel
	.section	.text._ZN9rocsolver6v33100L18geqr2_kernel_smallILi256EdidPKPdEEvT1_S5_T3_lS5_lPT2_lPT0_l,"axG",@progbits,_ZN9rocsolver6v33100L18geqr2_kernel_smallILi256EdidPKPdEEvT1_S5_T3_lS5_lPT2_lPT0_l,comdat
.Lfunc_end11:
	.size	_ZN9rocsolver6v33100L18geqr2_kernel_smallILi256EdidPKPdEEvT1_S5_T3_lS5_lPT2_lPT0_l, .Lfunc_end11-_ZN9rocsolver6v33100L18geqr2_kernel_smallILi256EdidPKPdEEvT1_S5_T3_lS5_lPT2_lPT0_l
                                        ; -- End function
	.set _ZN9rocsolver6v33100L18geqr2_kernel_smallILi256EdidPKPdEEvT1_S5_T3_lS5_lPT2_lPT0_l.num_vgpr, 38
	.set _ZN9rocsolver6v33100L18geqr2_kernel_smallILi256EdidPKPdEEvT1_S5_T3_lS5_lPT2_lPT0_l.num_agpr, 0
	.set _ZN9rocsolver6v33100L18geqr2_kernel_smallILi256EdidPKPdEEvT1_S5_T3_lS5_lPT2_lPT0_l.numbered_sgpr, 48
	.set _ZN9rocsolver6v33100L18geqr2_kernel_smallILi256EdidPKPdEEvT1_S5_T3_lS5_lPT2_lPT0_l.num_named_barrier, 0
	.set _ZN9rocsolver6v33100L18geqr2_kernel_smallILi256EdidPKPdEEvT1_S5_T3_lS5_lPT2_lPT0_l.private_seg_size, 0
	.set _ZN9rocsolver6v33100L18geqr2_kernel_smallILi256EdidPKPdEEvT1_S5_T3_lS5_lPT2_lPT0_l.uses_vcc, 1
	.set _ZN9rocsolver6v33100L18geqr2_kernel_smallILi256EdidPKPdEEvT1_S5_T3_lS5_lPT2_lPT0_l.uses_flat_scratch, 0
	.set _ZN9rocsolver6v33100L18geqr2_kernel_smallILi256EdidPKPdEEvT1_S5_T3_lS5_lPT2_lPT0_l.has_dyn_sized_stack, 0
	.set _ZN9rocsolver6v33100L18geqr2_kernel_smallILi256EdidPKPdEEvT1_S5_T3_lS5_lPT2_lPT0_l.has_recursion, 0
	.set _ZN9rocsolver6v33100L18geqr2_kernel_smallILi256EdidPKPdEEvT1_S5_T3_lS5_lPT2_lPT0_l.has_indirect_call, 0
	.section	.AMDGPU.csdata,"",@progbits
; Kernel info:
; codeLenInByte = 2428
; TotalNumSgprs: 54
; NumVgprs: 38
; NumAgprs: 0
; TotalNumVgprs: 38
; ScratchSize: 0
; MemoryBound: 0
; FloatMode: 240
; IeeeMode: 1
; LDSByteSize: 0 bytes/workgroup (compile time only)
; SGPRBlocks: 6
; VGPRBlocks: 4
; NumSGPRsForWavesPerEU: 54
; NumVGPRsForWavesPerEU: 38
; AccumOffset: 40
; Occupancy: 8
; WaveLimiterHint : 1
; COMPUTE_PGM_RSRC2:SCRATCH_EN: 0
; COMPUTE_PGM_RSRC2:USER_SGPR: 2
; COMPUTE_PGM_RSRC2:TRAP_HANDLER: 0
; COMPUTE_PGM_RSRC2:TGID_X_EN: 1
; COMPUTE_PGM_RSRC2:TGID_Y_EN: 0
; COMPUTE_PGM_RSRC2:TGID_Z_EN: 1
; COMPUTE_PGM_RSRC2:TIDIG_COMP_CNT: 0
; COMPUTE_PGM_RSRC3_GFX90A:ACCUM_OFFSET: 9
; COMPUTE_PGM_RSRC3_GFX90A:TG_SPLIT: 0
	.section	.text._ZN9rocsolver6v33100L16reset_batch_infoIdiiPdEEvT2_lT0_T1_,"axG",@progbits,_ZN9rocsolver6v33100L16reset_batch_infoIdiiPdEEvT2_lT0_T1_,comdat
	.globl	_ZN9rocsolver6v33100L16reset_batch_infoIdiiPdEEvT2_lT0_T1_ ; -- Begin function _ZN9rocsolver6v33100L16reset_batch_infoIdiiPdEEvT2_lT0_T1_
	.p2align	8
	.type	_ZN9rocsolver6v33100L16reset_batch_infoIdiiPdEEvT2_lT0_T1_,@function
_ZN9rocsolver6v33100L16reset_batch_infoIdiiPdEEvT2_lT0_T1_: ; @_ZN9rocsolver6v33100L16reset_batch_infoIdiiPdEEvT2_lT0_T1_
; %bb.0:
	s_load_dword s6, s[0:1], 0x24
	s_load_dwordx2 s[4:5], s[0:1], 0x10
	s_waitcnt lgkmcnt(0)
	s_and_b32 s6, s6, 0xffff
	s_mul_i32 s2, s2, s6
	v_add_u32_e32 v0, s2, v0
	v_cmp_gt_i32_e32 vcc, s4, v0
	s_and_saveexec_b64 s[6:7], vcc
	s_cbranch_execz .LBB12_2
; %bb.1:
	s_load_dwordx4 s[8:11], s[0:1], 0x0
	s_ashr_i32 s0, s3, 31
	v_ashrrev_i32_e32 v1, 31, v0
	v_cvt_f64_i32_e32 v[2:3], s5
	s_waitcnt lgkmcnt(0)
	s_mul_hi_u32 s1, s10, s3
	s_mul_i32 s2, s10, s0
	s_mul_i32 s4, s11, s3
	s_add_i32 s1, s1, s2
	s_mul_i32 s0, s10, s3
	s_add_i32 s1, s1, s4
	s_lshl_b64 s[0:1], s[0:1], 3
	s_add_u32 s0, s8, s0
	s_addc_u32 s1, s9, s1
	v_lshl_add_u64 v[0:1], v[0:1], 3, s[0:1]
	global_store_dwordx2 v[0:1], v[2:3], off
.LBB12_2:
	s_endpgm
	.section	.rodata,"a",@progbits
	.p2align	6, 0x0
	.amdhsa_kernel _ZN9rocsolver6v33100L16reset_batch_infoIdiiPdEEvT2_lT0_T1_
		.amdhsa_group_segment_fixed_size 0
		.amdhsa_private_segment_fixed_size 0
		.amdhsa_kernarg_size 280
		.amdhsa_user_sgpr_count 2
		.amdhsa_user_sgpr_dispatch_ptr 0
		.amdhsa_user_sgpr_queue_ptr 0
		.amdhsa_user_sgpr_kernarg_segment_ptr 1
		.amdhsa_user_sgpr_dispatch_id 0
		.amdhsa_user_sgpr_kernarg_preload_length 0
		.amdhsa_user_sgpr_kernarg_preload_offset 0
		.amdhsa_user_sgpr_private_segment_size 0
		.amdhsa_uses_dynamic_stack 0
		.amdhsa_enable_private_segment 0
		.amdhsa_system_sgpr_workgroup_id_x 1
		.amdhsa_system_sgpr_workgroup_id_y 1
		.amdhsa_system_sgpr_workgroup_id_z 0
		.amdhsa_system_sgpr_workgroup_info 0
		.amdhsa_system_vgpr_workitem_id 0
		.amdhsa_next_free_vgpr 4
		.amdhsa_next_free_sgpr 12
		.amdhsa_accum_offset 4
		.amdhsa_reserve_vcc 1
		.amdhsa_float_round_mode_32 0
		.amdhsa_float_round_mode_16_64 0
		.amdhsa_float_denorm_mode_32 3
		.amdhsa_float_denorm_mode_16_64 3
		.amdhsa_dx10_clamp 1
		.amdhsa_ieee_mode 1
		.amdhsa_fp16_overflow 0
		.amdhsa_tg_split 0
		.amdhsa_exception_fp_ieee_invalid_op 0
		.amdhsa_exception_fp_denorm_src 0
		.amdhsa_exception_fp_ieee_div_zero 0
		.amdhsa_exception_fp_ieee_overflow 0
		.amdhsa_exception_fp_ieee_underflow 0
		.amdhsa_exception_fp_ieee_inexact 0
		.amdhsa_exception_int_div_zero 0
	.end_amdhsa_kernel
	.section	.text._ZN9rocsolver6v33100L16reset_batch_infoIdiiPdEEvT2_lT0_T1_,"axG",@progbits,_ZN9rocsolver6v33100L16reset_batch_infoIdiiPdEEvT2_lT0_T1_,comdat
.Lfunc_end12:
	.size	_ZN9rocsolver6v33100L16reset_batch_infoIdiiPdEEvT2_lT0_T1_, .Lfunc_end12-_ZN9rocsolver6v33100L16reset_batch_infoIdiiPdEEvT2_lT0_T1_
                                        ; -- End function
	.set _ZN9rocsolver6v33100L16reset_batch_infoIdiiPdEEvT2_lT0_T1_.num_vgpr, 4
	.set _ZN9rocsolver6v33100L16reset_batch_infoIdiiPdEEvT2_lT0_T1_.num_agpr, 0
	.set _ZN9rocsolver6v33100L16reset_batch_infoIdiiPdEEvT2_lT0_T1_.numbered_sgpr, 12
	.set _ZN9rocsolver6v33100L16reset_batch_infoIdiiPdEEvT2_lT0_T1_.num_named_barrier, 0
	.set _ZN9rocsolver6v33100L16reset_batch_infoIdiiPdEEvT2_lT0_T1_.private_seg_size, 0
	.set _ZN9rocsolver6v33100L16reset_batch_infoIdiiPdEEvT2_lT0_T1_.uses_vcc, 1
	.set _ZN9rocsolver6v33100L16reset_batch_infoIdiiPdEEvT2_lT0_T1_.uses_flat_scratch, 0
	.set _ZN9rocsolver6v33100L16reset_batch_infoIdiiPdEEvT2_lT0_T1_.has_dyn_sized_stack, 0
	.set _ZN9rocsolver6v33100L16reset_batch_infoIdiiPdEEvT2_lT0_T1_.has_recursion, 0
	.set _ZN9rocsolver6v33100L16reset_batch_infoIdiiPdEEvT2_lT0_T1_.has_indirect_call, 0
	.section	.AMDGPU.csdata,"",@progbits
; Kernel info:
; codeLenInByte = 128
; TotalNumSgprs: 18
; NumVgprs: 4
; NumAgprs: 0
; TotalNumVgprs: 4
; ScratchSize: 0
; MemoryBound: 0
; FloatMode: 240
; IeeeMode: 1
; LDSByteSize: 0 bytes/workgroup (compile time only)
; SGPRBlocks: 2
; VGPRBlocks: 0
; NumSGPRsForWavesPerEU: 18
; NumVGPRsForWavesPerEU: 4
; AccumOffset: 4
; Occupancy: 8
; WaveLimiterHint : 0
; COMPUTE_PGM_RSRC2:SCRATCH_EN: 0
; COMPUTE_PGM_RSRC2:USER_SGPR: 2
; COMPUTE_PGM_RSRC2:TRAP_HANDLER: 0
; COMPUTE_PGM_RSRC2:TGID_X_EN: 1
; COMPUTE_PGM_RSRC2:TGID_Y_EN: 1
; COMPUTE_PGM_RSRC2:TGID_Z_EN: 0
; COMPUTE_PGM_RSRC2:TIDIG_COMP_CNT: 0
; COMPUTE_PGM_RSRC3_GFX90A:ACCUM_OFFSET: 0
; COMPUTE_PGM_RSRC3_GFX90A:TG_SPLIT: 0
	.section	.text._ZN9rocsolver6v33100L8set_diagIdidPKPdTnNSt9enable_ifIXoont18rocblas_is_complexIT_E18rocblas_is_complexIT1_EEiE4typeELi0EEEvPS7_llT2_lT0_lSC_b,"axG",@progbits,_ZN9rocsolver6v33100L8set_diagIdidPKPdTnNSt9enable_ifIXoont18rocblas_is_complexIT_E18rocblas_is_complexIT1_EEiE4typeELi0EEEvPS7_llT2_lT0_lSC_b,comdat
	.globl	_ZN9rocsolver6v33100L8set_diagIdidPKPdTnNSt9enable_ifIXoont18rocblas_is_complexIT_E18rocblas_is_complexIT1_EEiE4typeELi0EEEvPS7_llT2_lT0_lSC_b ; -- Begin function _ZN9rocsolver6v33100L8set_diagIdidPKPdTnNSt9enable_ifIXoont18rocblas_is_complexIT_E18rocblas_is_complexIT1_EEiE4typeELi0EEEvPS7_llT2_lT0_lSC_b
	.p2align	8
	.type	_ZN9rocsolver6v33100L8set_diagIdidPKPdTnNSt9enable_ifIXoont18rocblas_is_complexIT_E18rocblas_is_complexIT1_EEiE4typeELi0EEEvPS7_llT2_lT0_lSC_b,@function
_ZN9rocsolver6v33100L8set_diagIdidPKPdTnNSt9enable_ifIXoont18rocblas_is_complexIT_E18rocblas_is_complexIT1_EEiE4typeELi0EEEvPS7_llT2_lT0_lSC_b: ; @_ZN9rocsolver6v33100L8set_diagIdidPKPdTnNSt9enable_ifIXoont18rocblas_is_complexIT_E18rocblas_is_complexIT1_EEiE4typeELi0EEEvPS7_llT2_lT0_lSC_b
; %bb.0:
	s_load_dword s4, s[0:1], 0x4c
	s_load_dwordx2 s[12:13], s[0:1], 0x38
	v_bfe_u32 v0, v0, 10, 10
	s_waitcnt lgkmcnt(0)
	s_lshr_b32 s4, s4, 16
	s_mul_i32 s3, s3, s4
	v_add_u32_e32 v0, s3, v0
	v_cmp_gt_i32_e32 vcc, s12, v0
	s_and_saveexec_b64 s[4:5], vcc
	s_cbranch_execz .LBB13_2
; %bb.1:
	s_load_dwordx8 s[4:11], s[0:1], 0x0
	s_load_dwordx2 s[14:15], s[0:1], 0x20
	s_bitcmp1_b32 s13, 0
	s_cselect_b64 vcc, -1, 0
	s_ashr_i32 s3, s2, 31
	s_lshl_b64 s[12:13], s[2:3], 3
	s_waitcnt lgkmcnt(0)
	s_add_u32 s10, s10, s12
	s_addc_u32 s11, s11, s13
	s_load_dwordx2 s[12:13], s[10:11], 0x0
	s_load_dword s16, s[0:1], 0x28
	s_lshl_b64 s[0:1], s[14:15], 3
	s_mul_i32 s3, s8, s3
	s_mul_i32 s9, s9, s2
	s_waitcnt lgkmcnt(0)
	s_add_u32 s0, s12, s0
	v_mad_u64_u32 v[2:3], s[10:11], v0, s16, v[0:1]
	s_addc_u32 s1, s13, s1
	v_ashrrev_i32_e32 v3, 31, v2
	v_lshl_add_u64 v[2:3], v[2:3], 3, s[0:1]
	flat_load_dwordx2 v[4:5], v[2:3]
	s_mul_hi_u32 s1, s8, s2
	s_add_i32 s1, s1, s3
	s_mul_i32 s0, s8, s2
	s_add_i32 s1, s1, s9
	s_lshl_b64 s[0:1], s[0:1], 3
	s_add_u32 s2, s4, s0
	s_addc_u32 s3, s5, s1
	s_lshl_b64 s[0:1], s[6:7], 3
	s_add_u32 s0, s2, s0
	v_ashrrev_i32_e32 v1, 31, v0
	s_addc_u32 s1, s3, s1
	v_mov_b32_e32 v6, 0x3ff00000
	v_lshl_add_u64 v[0:1], v[0:1], 3, s[0:1]
	s_waitcnt vmcnt(0) lgkmcnt(0)
	global_store_dwordx2 v[0:1], v[4:5], off
	v_cndmask_b32_e32 v1, v5, v6, vcc
	v_cndmask_b32_e64 v0, v4, 0, vcc
	flat_store_dwordx2 v[2:3], v[0:1]
.LBB13_2:
	s_endpgm
	.section	.rodata,"a",@progbits
	.p2align	6, 0x0
	.amdhsa_kernel _ZN9rocsolver6v33100L8set_diagIdidPKPdTnNSt9enable_ifIXoont18rocblas_is_complexIT_E18rocblas_is_complexIT1_EEiE4typeELi0EEEvPS7_llT2_lT0_lSC_b
		.amdhsa_group_segment_fixed_size 0
		.amdhsa_private_segment_fixed_size 0
		.amdhsa_kernarg_size 320
		.amdhsa_user_sgpr_count 2
		.amdhsa_user_sgpr_dispatch_ptr 0
		.amdhsa_user_sgpr_queue_ptr 0
		.amdhsa_user_sgpr_kernarg_segment_ptr 1
		.amdhsa_user_sgpr_dispatch_id 0
		.amdhsa_user_sgpr_kernarg_preload_length 0
		.amdhsa_user_sgpr_kernarg_preload_offset 0
		.amdhsa_user_sgpr_private_segment_size 0
		.amdhsa_uses_dynamic_stack 0
		.amdhsa_enable_private_segment 0
		.amdhsa_system_sgpr_workgroup_id_x 1
		.amdhsa_system_sgpr_workgroup_id_y 1
		.amdhsa_system_sgpr_workgroup_id_z 0
		.amdhsa_system_sgpr_workgroup_info 0
		.amdhsa_system_vgpr_workitem_id 1
		.amdhsa_next_free_vgpr 7
		.amdhsa_next_free_sgpr 17
		.amdhsa_accum_offset 8
		.amdhsa_reserve_vcc 1
		.amdhsa_float_round_mode_32 0
		.amdhsa_float_round_mode_16_64 0
		.amdhsa_float_denorm_mode_32 3
		.amdhsa_float_denorm_mode_16_64 3
		.amdhsa_dx10_clamp 1
		.amdhsa_ieee_mode 1
		.amdhsa_fp16_overflow 0
		.amdhsa_tg_split 0
		.amdhsa_exception_fp_ieee_invalid_op 0
		.amdhsa_exception_fp_denorm_src 0
		.amdhsa_exception_fp_ieee_div_zero 0
		.amdhsa_exception_fp_ieee_overflow 0
		.amdhsa_exception_fp_ieee_underflow 0
		.amdhsa_exception_fp_ieee_inexact 0
		.amdhsa_exception_int_div_zero 0
	.end_amdhsa_kernel
	.section	.text._ZN9rocsolver6v33100L8set_diagIdidPKPdTnNSt9enable_ifIXoont18rocblas_is_complexIT_E18rocblas_is_complexIT1_EEiE4typeELi0EEEvPS7_llT2_lT0_lSC_b,"axG",@progbits,_ZN9rocsolver6v33100L8set_diagIdidPKPdTnNSt9enable_ifIXoont18rocblas_is_complexIT_E18rocblas_is_complexIT1_EEiE4typeELi0EEEvPS7_llT2_lT0_lSC_b,comdat
.Lfunc_end13:
	.size	_ZN9rocsolver6v33100L8set_diagIdidPKPdTnNSt9enable_ifIXoont18rocblas_is_complexIT_E18rocblas_is_complexIT1_EEiE4typeELi0EEEvPS7_llT2_lT0_lSC_b, .Lfunc_end13-_ZN9rocsolver6v33100L8set_diagIdidPKPdTnNSt9enable_ifIXoont18rocblas_is_complexIT_E18rocblas_is_complexIT1_EEiE4typeELi0EEEvPS7_llT2_lT0_lSC_b
                                        ; -- End function
	.set _ZN9rocsolver6v33100L8set_diagIdidPKPdTnNSt9enable_ifIXoont18rocblas_is_complexIT_E18rocblas_is_complexIT1_EEiE4typeELi0EEEvPS7_llT2_lT0_lSC_b.num_vgpr, 7
	.set _ZN9rocsolver6v33100L8set_diagIdidPKPdTnNSt9enable_ifIXoont18rocblas_is_complexIT_E18rocblas_is_complexIT1_EEiE4typeELi0EEEvPS7_llT2_lT0_lSC_b.num_agpr, 0
	.set _ZN9rocsolver6v33100L8set_diagIdidPKPdTnNSt9enable_ifIXoont18rocblas_is_complexIT_E18rocblas_is_complexIT1_EEiE4typeELi0EEEvPS7_llT2_lT0_lSC_b.numbered_sgpr, 17
	.set _ZN9rocsolver6v33100L8set_diagIdidPKPdTnNSt9enable_ifIXoont18rocblas_is_complexIT_E18rocblas_is_complexIT1_EEiE4typeELi0EEEvPS7_llT2_lT0_lSC_b.num_named_barrier, 0
	.set _ZN9rocsolver6v33100L8set_diagIdidPKPdTnNSt9enable_ifIXoont18rocblas_is_complexIT_E18rocblas_is_complexIT1_EEiE4typeELi0EEEvPS7_llT2_lT0_lSC_b.private_seg_size, 0
	.set _ZN9rocsolver6v33100L8set_diagIdidPKPdTnNSt9enable_ifIXoont18rocblas_is_complexIT_E18rocblas_is_complexIT1_EEiE4typeELi0EEEvPS7_llT2_lT0_lSC_b.uses_vcc, 1
	.set _ZN9rocsolver6v33100L8set_diagIdidPKPdTnNSt9enable_ifIXoont18rocblas_is_complexIT_E18rocblas_is_complexIT1_EEiE4typeELi0EEEvPS7_llT2_lT0_lSC_b.uses_flat_scratch, 0
	.set _ZN9rocsolver6v33100L8set_diagIdidPKPdTnNSt9enable_ifIXoont18rocblas_is_complexIT_E18rocblas_is_complexIT1_EEiE4typeELi0EEEvPS7_llT2_lT0_lSC_b.has_dyn_sized_stack, 0
	.set _ZN9rocsolver6v33100L8set_diagIdidPKPdTnNSt9enable_ifIXoont18rocblas_is_complexIT_E18rocblas_is_complexIT1_EEiE4typeELi0EEEvPS7_llT2_lT0_lSC_b.has_recursion, 0
	.set _ZN9rocsolver6v33100L8set_diagIdidPKPdTnNSt9enable_ifIXoont18rocblas_is_complexIT_E18rocblas_is_complexIT1_EEiE4typeELi0EEEvPS7_llT2_lT0_lSC_b.has_indirect_call, 0
	.section	.AMDGPU.csdata,"",@progbits
; Kernel info:
; codeLenInByte = 260
; TotalNumSgprs: 23
; NumVgprs: 7
; NumAgprs: 0
; TotalNumVgprs: 7
; ScratchSize: 0
; MemoryBound: 0
; FloatMode: 240
; IeeeMode: 1
; LDSByteSize: 0 bytes/workgroup (compile time only)
; SGPRBlocks: 2
; VGPRBlocks: 0
; NumSGPRsForWavesPerEU: 23
; NumVGPRsForWavesPerEU: 7
; AccumOffset: 8
; Occupancy: 8
; WaveLimiterHint : 1
; COMPUTE_PGM_RSRC2:SCRATCH_EN: 0
; COMPUTE_PGM_RSRC2:USER_SGPR: 2
; COMPUTE_PGM_RSRC2:TRAP_HANDLER: 0
; COMPUTE_PGM_RSRC2:TGID_X_EN: 1
; COMPUTE_PGM_RSRC2:TGID_Y_EN: 1
; COMPUTE_PGM_RSRC2:TGID_Z_EN: 0
; COMPUTE_PGM_RSRC2:TIDIG_COMP_CNT: 1
; COMPUTE_PGM_RSRC3_GFX90A:ACCUM_OFFSET: 1
; COMPUTE_PGM_RSRC3_GFX90A:TG_SPLIT: 0
	.section	.text._ZN9rocsolver6v33100L11set_taubetaIdidPKPdEEvPT_lS6_T2_llPT1_ll,"axG",@progbits,_ZN9rocsolver6v33100L11set_taubetaIdidPKPdEEvPT_lS6_T2_llPT1_ll,comdat
	.globl	_ZN9rocsolver6v33100L11set_taubetaIdidPKPdEEvPT_lS6_T2_llPT1_ll ; -- Begin function _ZN9rocsolver6v33100L11set_taubetaIdidPKPdEEvPT_lS6_T2_llPT1_ll
	.p2align	8
	.type	_ZN9rocsolver6v33100L11set_taubetaIdidPKPdEEvPT_lS6_T2_llPT1_ll,@function
_ZN9rocsolver6v33100L11set_taubetaIdidPKPdEEvPT_lS6_T2_llPT1_ll: ; @_ZN9rocsolver6v33100L11set_taubetaIdidPKPdEEvPT_lS6_T2_llPT1_ll
; %bb.0:
	s_load_dwordx8 s[4:11], s[0:1], 0x0
	s_load_dwordx2 s[20:21], s[0:1], 0x20
	s_load_dwordx4 s[12:15], s[0:1], 0x30
	s_ashr_i32 s3, s2, 31
	s_lshl_b64 s[18:19], s[2:3], 3
	s_waitcnt lgkmcnt(0)
	s_add_u32 s10, s10, s18
	s_addc_u32 s11, s11, s19
	s_load_dwordx2 s[22:23], s[10:11], 0x0
	s_mov_b64 s[16:17], 0
	s_cmp_eq_u64 s[12:13], 0
	s_mov_b64 s[10:11], 0
	s_cbranch_scc1 .LBB14_2
; %bb.1:
	s_load_dwordx2 s[0:1], s[0:1], 0x40
	s_waitcnt lgkmcnt(0)
	s_mul_i32 s10, s0, s3
	s_mul_hi_u32 s11, s0, s2
	s_mul_i32 s1, s1, s2
	s_add_i32 s10, s11, s10
	s_mul_i32 s0, s0, s2
	s_add_i32 s1, s10, s1
	s_lshl_b64 s[0:1], s[0:1], 3
	s_add_u32 s10, s12, s0
	s_addc_u32 s11, s13, s1
	s_lshl_b64 s[0:1], s[14:15], 3
	s_add_u32 s10, s10, s0
	s_addc_u32 s11, s11, s1
.LBB14_2:
	s_lshl_b64 s[0:1], s[20:21], 3
	s_waitcnt lgkmcnt(0)
	s_add_u32 s0, s22, s0
	s_mul_i32 s3, s6, s3
	s_mul_hi_u32 s12, s6, s2
	s_addc_u32 s1, s23, s1
	s_add_i32 s3, s12, s3
	s_mul_i32 s7, s7, s2
	s_add_i32 s3, s3, s7
	s_mul_i32 s2, s6, s2
	s_lshl_b64 s[2:3], s[2:3], 3
	s_add_u32 s2, s4, s2
	s_addc_u32 s3, s5, s3
	s_add_u32 s8, s8, s18
	s_addc_u32 s9, s9, s19
	s_load_dwordx2 s[12:13], s[8:9], 0x0
	s_cmp_eq_u64 s[10:11], 0
	s_cselect_b64 s[6:7], -1, 0
	s_cmp_lg_u64 s[10:11], 0
	s_cselect_b64 s[4:5], -1, 0
	s_waitcnt lgkmcnt(0)
	v_cmp_ngt_f64_e64 s[14:15], s[12:13], 0
	s_and_b64 vcc, exec, s[14:15]
	s_cbranch_vccz .LBB14_8
; %bb.3:
	v_mov_b32_e32 v0, 0
	v_mov_b32_e32 v1, 0x3ff00000
	global_store_dwordx2 v0, v[0:1], s[8:9]
	v_mov_b32_e32 v1, v0
	s_mov_b64 s[18:19], 0
	s_and_b64 vcc, exec, s[4:5]
	s_mov_b64 s[14:15], 0
	global_store_dwordx2 v0, v[0:1], s[2:3]
                                        ; implicit-def: $vgpr0_vgpr1
	s_cbranch_vccnz .LBB14_9
; %bb.4:
	s_and_b64 vcc, exec, s[18:19]
	s_cbranch_vccnz .LBB14_10
.LBB14_5:
	s_andn2_b64 vcc, exec, s[14:15]
	s_cbranch_vccz .LBB14_11
.LBB14_6:
	s_andn2_b64 vcc, exec, s[16:17]
	s_cbranch_vccz .LBB14_12
; %bb.7:
	s_endpgm
.LBB14_8:
                                        ; implicit-def: $vgpr0_vgpr1
	s_mov_b64 s[14:15], 0
	s_cbranch_execz .LBB14_5
	s_branch .LBB14_10
.LBB14_9:
	v_mov_b64_e32 v[0:1], s[0:1]
	flat_load_dwordx2 v[0:1], v[0:1]
	s_mov_b64 s[14:15], -1
	s_and_b64 vcc, exec, s[18:19]
	s_cbranch_vccz .LBB14_5
.LBB14_10:
	v_mov_b64_e32 v[2:3], s[0:1]
	flat_load_dwordx2 v[4:5], v[2:3]
	s_mov_b32 s14, 0
	s_brev_b32 s15, 8
	v_mov_b32_e32 v6, 0x100
	v_mov_b32_e32 v8, 0xffffff80
	;; [unrolled: 1-line block ×4, first 2 shown]
	s_mov_b64 s[16:17], s[6:7]
	s_waitcnt vmcnt(0) lgkmcnt(0)
	v_fma_f64 v[0:1], v[4:5], v[4:5], s[12:13]
	v_cmp_gt_f64_e32 vcc, s[14:15], v[0:1]
	s_mov_b64 s[14:15], s[4:5]
	s_nop 0
	v_cndmask_b32_e32 v6, 0, v6, vcc
	v_ldexp_f64 v[0:1], v[0:1], v6
	v_rsq_f64_e32 v[6:7], v[0:1]
	v_cndmask_b32_e32 v13, 0, v8, vcc
	v_cmp_class_f64_e32 vcc, v[0:1], v12
	v_mul_f64 v[8:9], v[0:1], v[6:7]
	v_mul_f64 v[6:7], v[6:7], 0.5
	v_fma_f64 v[10:11], -v[6:7], v[8:9], 0.5
	v_fmac_f64_e32 v[8:9], v[8:9], v[10:11]
	v_fmac_f64_e32 v[6:7], v[6:7], v[10:11]
	v_fma_f64 v[10:11], -v[8:9], v[8:9], v[0:1]
	v_fmac_f64_e32 v[8:9], v[10:11], v[6:7]
	v_fma_f64 v[10:11], -v[8:9], v[8:9], v[0:1]
	v_fmac_f64_e32 v[8:9], v[10:11], v[6:7]
	v_ldexp_f64 v[6:7], v[8:9], v13
	v_cndmask_b32_e32 v1, v7, v1, vcc
	v_cndmask_b32_e32 v0, v6, v0, vcc
	v_xor_b32_e32 v6, 0x80000000, v1
	v_cmp_le_f64_e32 vcc, 0, v[4:5]
	s_nop 1
	v_cndmask_b32_e32 v1, v1, v6, vcc
	v_add_f64 v[4:5], v[4:5], -v[0:1]
	v_div_scale_f64 v[6:7], s[12:13], v[4:5], v[4:5], 1.0
	v_rcp_f64_e32 v[8:9], v[6:7]
	v_div_scale_f64 v[10:11], vcc, 1.0, v[4:5], 1.0
	v_fma_f64 v[12:13], -v[6:7], v[8:9], 1.0
	v_fmac_f64_e32 v[8:9], v[8:9], v[12:13]
	v_fma_f64 v[12:13], -v[6:7], v[8:9], 1.0
	v_fmac_f64_e32 v[8:9], v[8:9], v[12:13]
	v_mul_f64 v[12:13], v[10:11], v[8:9]
	v_fma_f64 v[6:7], -v[6:7], v[12:13], v[10:11]
	v_div_fmas_f64 v[6:7], v[6:7], v[8:9], v[12:13]
	v_div_fixup_f64 v[4:5], v[6:7], v[4:5], 1.0
	global_store_dwordx2 v14, v[4:5], s[8:9]
	flat_load_dwordx2 v[2:3], v[2:3]
	s_waitcnt vmcnt(0) lgkmcnt(0)
	v_add_f64 v[2:3], v[0:1], -v[2:3]
	v_div_scale_f64 v[4:5], s[8:9], v[0:1], v[0:1], v[2:3]
	v_rcp_f64_e32 v[6:7], v[4:5]
	v_div_scale_f64 v[8:9], vcc, v[2:3], v[0:1], v[2:3]
	v_fma_f64 v[10:11], -v[4:5], v[6:7], 1.0
	v_fmac_f64_e32 v[6:7], v[6:7], v[10:11]
	v_fma_f64 v[10:11], -v[4:5], v[6:7], 1.0
	v_fmac_f64_e32 v[6:7], v[6:7], v[10:11]
	v_mul_f64 v[10:11], v[8:9], v[6:7]
	v_fma_f64 v[4:5], -v[4:5], v[10:11], v[8:9]
	v_div_fmas_f64 v[4:5], v[4:5], v[6:7], v[10:11]
	v_div_fixup_f64 v[2:3], v[4:5], v[0:1], v[2:3]
	global_store_dwordx2 v14, v[2:3], s[2:3]
	s_andn2_b64 vcc, exec, s[14:15]
	s_cbranch_vccnz .LBB14_6
.LBB14_11:
	v_mov_b32_e32 v2, 0
	s_waitcnt vmcnt(0) lgkmcnt(0)
	global_store_dwordx2 v2, v[0:1], s[10:11]
	v_mov_b64_e32 v[0:1], 1.0
.LBB14_12:
	v_mov_b64_e32 v[2:3], s[0:1]
	s_waitcnt vmcnt(0) lgkmcnt(0)
	flat_store_dwordx2 v[2:3], v[0:1]
	s_endpgm
	.section	.rodata,"a",@progbits
	.p2align	6, 0x0
	.amdhsa_kernel _ZN9rocsolver6v33100L11set_taubetaIdidPKPdEEvPT_lS6_T2_llPT1_ll
		.amdhsa_group_segment_fixed_size 0
		.amdhsa_private_segment_fixed_size 0
		.amdhsa_kernarg_size 72
		.amdhsa_user_sgpr_count 2
		.amdhsa_user_sgpr_dispatch_ptr 0
		.amdhsa_user_sgpr_queue_ptr 0
		.amdhsa_user_sgpr_kernarg_segment_ptr 1
		.amdhsa_user_sgpr_dispatch_id 0
		.amdhsa_user_sgpr_kernarg_preload_length 0
		.amdhsa_user_sgpr_kernarg_preload_offset 0
		.amdhsa_user_sgpr_private_segment_size 0
		.amdhsa_uses_dynamic_stack 0
		.amdhsa_enable_private_segment 0
		.amdhsa_system_sgpr_workgroup_id_x 1
		.amdhsa_system_sgpr_workgroup_id_y 0
		.amdhsa_system_sgpr_workgroup_id_z 0
		.amdhsa_system_sgpr_workgroup_info 0
		.amdhsa_system_vgpr_workitem_id 0
		.amdhsa_next_free_vgpr 15
		.amdhsa_next_free_sgpr 24
		.amdhsa_accum_offset 16
		.amdhsa_reserve_vcc 1
		.amdhsa_float_round_mode_32 0
		.amdhsa_float_round_mode_16_64 0
		.amdhsa_float_denorm_mode_32 3
		.amdhsa_float_denorm_mode_16_64 3
		.amdhsa_dx10_clamp 1
		.amdhsa_ieee_mode 1
		.amdhsa_fp16_overflow 0
		.amdhsa_tg_split 0
		.amdhsa_exception_fp_ieee_invalid_op 0
		.amdhsa_exception_fp_denorm_src 0
		.amdhsa_exception_fp_ieee_div_zero 0
		.amdhsa_exception_fp_ieee_overflow 0
		.amdhsa_exception_fp_ieee_underflow 0
		.amdhsa_exception_fp_ieee_inexact 0
		.amdhsa_exception_int_div_zero 0
	.end_amdhsa_kernel
	.section	.text._ZN9rocsolver6v33100L11set_taubetaIdidPKPdEEvPT_lS6_T2_llPT1_ll,"axG",@progbits,_ZN9rocsolver6v33100L11set_taubetaIdidPKPdEEvPT_lS6_T2_llPT1_ll,comdat
.Lfunc_end14:
	.size	_ZN9rocsolver6v33100L11set_taubetaIdidPKPdEEvPT_lS6_T2_llPT1_ll, .Lfunc_end14-_ZN9rocsolver6v33100L11set_taubetaIdidPKPdEEvPT_lS6_T2_llPT1_ll
                                        ; -- End function
	.set _ZN9rocsolver6v33100L11set_taubetaIdidPKPdEEvPT_lS6_T2_llPT1_ll.num_vgpr, 15
	.set _ZN9rocsolver6v33100L11set_taubetaIdidPKPdEEvPT_lS6_T2_llPT1_ll.num_agpr, 0
	.set _ZN9rocsolver6v33100L11set_taubetaIdidPKPdEEvPT_lS6_T2_llPT1_ll.numbered_sgpr, 24
	.set _ZN9rocsolver6v33100L11set_taubetaIdidPKPdEEvPT_lS6_T2_llPT1_ll.num_named_barrier, 0
	.set _ZN9rocsolver6v33100L11set_taubetaIdidPKPdEEvPT_lS6_T2_llPT1_ll.private_seg_size, 0
	.set _ZN9rocsolver6v33100L11set_taubetaIdidPKPdEEvPT_lS6_T2_llPT1_ll.uses_vcc, 1
	.set _ZN9rocsolver6v33100L11set_taubetaIdidPKPdEEvPT_lS6_T2_llPT1_ll.uses_flat_scratch, 0
	.set _ZN9rocsolver6v33100L11set_taubetaIdidPKPdEEvPT_lS6_T2_llPT1_ll.has_dyn_sized_stack, 0
	.set _ZN9rocsolver6v33100L11set_taubetaIdidPKPdEEvPT_lS6_T2_llPT1_ll.has_recursion, 0
	.set _ZN9rocsolver6v33100L11set_taubetaIdidPKPdEEvPT_lS6_T2_llPT1_ll.has_indirect_call, 0
	.section	.AMDGPU.csdata,"",@progbits
; Kernel info:
; codeLenInByte = 780
; TotalNumSgprs: 30
; NumVgprs: 15
; NumAgprs: 0
; TotalNumVgprs: 15
; ScratchSize: 0
; MemoryBound: 0
; FloatMode: 240
; IeeeMode: 1
; LDSByteSize: 0 bytes/workgroup (compile time only)
; SGPRBlocks: 3
; VGPRBlocks: 1
; NumSGPRsForWavesPerEU: 30
; NumVGPRsForWavesPerEU: 15
; AccumOffset: 16
; Occupancy: 8
; WaveLimiterHint : 1
; COMPUTE_PGM_RSRC2:SCRATCH_EN: 0
; COMPUTE_PGM_RSRC2:USER_SGPR: 2
; COMPUTE_PGM_RSRC2:TRAP_HANDLER: 0
; COMPUTE_PGM_RSRC2:TGID_X_EN: 1
; COMPUTE_PGM_RSRC2:TGID_Y_EN: 0
; COMPUTE_PGM_RSRC2:TGID_Z_EN: 0
; COMPUTE_PGM_RSRC2:TIDIG_COMP_CNT: 0
; COMPUTE_PGM_RSRC3_GFX90A:ACCUM_OFFSET: 3
; COMPUTE_PGM_RSRC3_GFX90A:TG_SPLIT: 0
	.section	.text._ZN9rocsolver6v33100L13conj_in_placeIdiPdTnNSt9enable_ifIXnt18rocblas_is_complexIT_EEiE4typeELi0EEEvT0_S7_T1_lS7_l,"axG",@progbits,_ZN9rocsolver6v33100L13conj_in_placeIdiPdTnNSt9enable_ifIXnt18rocblas_is_complexIT_EEiE4typeELi0EEEvT0_S7_T1_lS7_l,comdat
	.globl	_ZN9rocsolver6v33100L13conj_in_placeIdiPdTnNSt9enable_ifIXnt18rocblas_is_complexIT_EEiE4typeELi0EEEvT0_S7_T1_lS7_l ; -- Begin function _ZN9rocsolver6v33100L13conj_in_placeIdiPdTnNSt9enable_ifIXnt18rocblas_is_complexIT_EEiE4typeELi0EEEvT0_S7_T1_lS7_l
	.p2align	8
	.type	_ZN9rocsolver6v33100L13conj_in_placeIdiPdTnNSt9enable_ifIXnt18rocblas_is_complexIT_EEiE4typeELi0EEEvT0_S7_T1_lS7_l,@function
_ZN9rocsolver6v33100L13conj_in_placeIdiPdTnNSt9enable_ifIXnt18rocblas_is_complexIT_EEiE4typeELi0EEEvT0_S7_T1_lS7_l: ; @_ZN9rocsolver6v33100L13conj_in_placeIdiPdTnNSt9enable_ifIXnt18rocblas_is_complexIT_EEiE4typeELi0EEEvT0_S7_T1_lS7_l
; %bb.0:
	s_endpgm
	.section	.rodata,"a",@progbits
	.p2align	6, 0x0
	.amdhsa_kernel _ZN9rocsolver6v33100L13conj_in_placeIdiPdTnNSt9enable_ifIXnt18rocblas_is_complexIT_EEiE4typeELi0EEEvT0_S7_T1_lS7_l
		.amdhsa_group_segment_fixed_size 0
		.amdhsa_private_segment_fixed_size 0
		.amdhsa_kernarg_size 40
		.amdhsa_user_sgpr_count 2
		.amdhsa_user_sgpr_dispatch_ptr 0
		.amdhsa_user_sgpr_queue_ptr 0
		.amdhsa_user_sgpr_kernarg_segment_ptr 1
		.amdhsa_user_sgpr_dispatch_id 0
		.amdhsa_user_sgpr_kernarg_preload_length 0
		.amdhsa_user_sgpr_kernarg_preload_offset 0
		.amdhsa_user_sgpr_private_segment_size 0
		.amdhsa_uses_dynamic_stack 0
		.amdhsa_enable_private_segment 0
		.amdhsa_system_sgpr_workgroup_id_x 1
		.amdhsa_system_sgpr_workgroup_id_y 0
		.amdhsa_system_sgpr_workgroup_id_z 0
		.amdhsa_system_sgpr_workgroup_info 0
		.amdhsa_system_vgpr_workitem_id 0
		.amdhsa_next_free_vgpr 1
		.amdhsa_next_free_sgpr 0
		.amdhsa_accum_offset 4
		.amdhsa_reserve_vcc 0
		.amdhsa_float_round_mode_32 0
		.amdhsa_float_round_mode_16_64 0
		.amdhsa_float_denorm_mode_32 3
		.amdhsa_float_denorm_mode_16_64 3
		.amdhsa_dx10_clamp 1
		.amdhsa_ieee_mode 1
		.amdhsa_fp16_overflow 0
		.amdhsa_tg_split 0
		.amdhsa_exception_fp_ieee_invalid_op 0
		.amdhsa_exception_fp_denorm_src 0
		.amdhsa_exception_fp_ieee_div_zero 0
		.amdhsa_exception_fp_ieee_overflow 0
		.amdhsa_exception_fp_ieee_underflow 0
		.amdhsa_exception_fp_ieee_inexact 0
		.amdhsa_exception_int_div_zero 0
	.end_amdhsa_kernel
	.section	.text._ZN9rocsolver6v33100L13conj_in_placeIdiPdTnNSt9enable_ifIXnt18rocblas_is_complexIT_EEiE4typeELi0EEEvT0_S7_T1_lS7_l,"axG",@progbits,_ZN9rocsolver6v33100L13conj_in_placeIdiPdTnNSt9enable_ifIXnt18rocblas_is_complexIT_EEiE4typeELi0EEEvT0_S7_T1_lS7_l,comdat
.Lfunc_end15:
	.size	_ZN9rocsolver6v33100L13conj_in_placeIdiPdTnNSt9enable_ifIXnt18rocblas_is_complexIT_EEiE4typeELi0EEEvT0_S7_T1_lS7_l, .Lfunc_end15-_ZN9rocsolver6v33100L13conj_in_placeIdiPdTnNSt9enable_ifIXnt18rocblas_is_complexIT_EEiE4typeELi0EEEvT0_S7_T1_lS7_l
                                        ; -- End function
	.set _ZN9rocsolver6v33100L13conj_in_placeIdiPdTnNSt9enable_ifIXnt18rocblas_is_complexIT_EEiE4typeELi0EEEvT0_S7_T1_lS7_l.num_vgpr, 0
	.set _ZN9rocsolver6v33100L13conj_in_placeIdiPdTnNSt9enable_ifIXnt18rocblas_is_complexIT_EEiE4typeELi0EEEvT0_S7_T1_lS7_l.num_agpr, 0
	.set _ZN9rocsolver6v33100L13conj_in_placeIdiPdTnNSt9enable_ifIXnt18rocblas_is_complexIT_EEiE4typeELi0EEEvT0_S7_T1_lS7_l.numbered_sgpr, 0
	.set _ZN9rocsolver6v33100L13conj_in_placeIdiPdTnNSt9enable_ifIXnt18rocblas_is_complexIT_EEiE4typeELi0EEEvT0_S7_T1_lS7_l.num_named_barrier, 0
	.set _ZN9rocsolver6v33100L13conj_in_placeIdiPdTnNSt9enable_ifIXnt18rocblas_is_complexIT_EEiE4typeELi0EEEvT0_S7_T1_lS7_l.private_seg_size, 0
	.set _ZN9rocsolver6v33100L13conj_in_placeIdiPdTnNSt9enable_ifIXnt18rocblas_is_complexIT_EEiE4typeELi0EEEvT0_S7_T1_lS7_l.uses_vcc, 0
	.set _ZN9rocsolver6v33100L13conj_in_placeIdiPdTnNSt9enable_ifIXnt18rocblas_is_complexIT_EEiE4typeELi0EEEvT0_S7_T1_lS7_l.uses_flat_scratch, 0
	.set _ZN9rocsolver6v33100L13conj_in_placeIdiPdTnNSt9enable_ifIXnt18rocblas_is_complexIT_EEiE4typeELi0EEEvT0_S7_T1_lS7_l.has_dyn_sized_stack, 0
	.set _ZN9rocsolver6v33100L13conj_in_placeIdiPdTnNSt9enable_ifIXnt18rocblas_is_complexIT_EEiE4typeELi0EEEvT0_S7_T1_lS7_l.has_recursion, 0
	.set _ZN9rocsolver6v33100L13conj_in_placeIdiPdTnNSt9enable_ifIXnt18rocblas_is_complexIT_EEiE4typeELi0EEEvT0_S7_T1_lS7_l.has_indirect_call, 0
	.section	.AMDGPU.csdata,"",@progbits
; Kernel info:
; codeLenInByte = 4
; TotalNumSgprs: 6
; NumVgprs: 0
; NumAgprs: 0
; TotalNumVgprs: 0
; ScratchSize: 0
; MemoryBound: 0
; FloatMode: 240
; IeeeMode: 1
; LDSByteSize: 0 bytes/workgroup (compile time only)
; SGPRBlocks: 0
; VGPRBlocks: 0
; NumSGPRsForWavesPerEU: 6
; NumVGPRsForWavesPerEU: 1
; AccumOffset: 4
; Occupancy: 8
; WaveLimiterHint : 0
; COMPUTE_PGM_RSRC2:SCRATCH_EN: 0
; COMPUTE_PGM_RSRC2:USER_SGPR: 2
; COMPUTE_PGM_RSRC2:TRAP_HANDLER: 0
; COMPUTE_PGM_RSRC2:TGID_X_EN: 1
; COMPUTE_PGM_RSRC2:TGID_Y_EN: 0
; COMPUTE_PGM_RSRC2:TGID_Z_EN: 0
; COMPUTE_PGM_RSRC2:TIDIG_COMP_CNT: 0
; COMPUTE_PGM_RSRC3_GFX90A:ACCUM_OFFSET: 0
; COMPUTE_PGM_RSRC3_GFX90A:TG_SPLIT: 0
	.section	.text._ZN9rocsolver6v33100L16larf_left_kernelILi1024EdiPKPdEEvT1_S5_T2_lS5_lPKT0_lS6_lS5_l,"axG",@progbits,_ZN9rocsolver6v33100L16larf_left_kernelILi1024EdiPKPdEEvT1_S5_T2_lS5_lPKT0_lS6_lS5_l,comdat
	.globl	_ZN9rocsolver6v33100L16larf_left_kernelILi1024EdiPKPdEEvT1_S5_T2_lS5_lPKT0_lS6_lS5_l ; -- Begin function _ZN9rocsolver6v33100L16larf_left_kernelILi1024EdiPKPdEEvT1_S5_T2_lS5_lPKT0_lS6_lS5_l
	.p2align	8
	.type	_ZN9rocsolver6v33100L16larf_left_kernelILi1024EdiPKPdEEvT1_S5_T2_lS5_lPKT0_lS6_lS5_l,@function
_ZN9rocsolver6v33100L16larf_left_kernelILi1024EdiPKPdEEvT1_S5_T2_lS5_lPKT0_lS6_lS5_l: ; @_ZN9rocsolver6v33100L16larf_left_kernelILi1024EdiPKPdEEvT1_S5_T2_lS5_lPKT0_lS6_lS5_l
; %bb.0:
	s_load_dwordx8 s[8:15], s[0:1], 0x28
	s_load_dword s20, s[0:1], 0x0
	s_load_dword s2, s[0:1], 0x48
	s_ashr_i32 s5, s4, 31
	s_lshl_b64 s[16:17], s[4:5], 3
	s_waitcnt lgkmcnt(0)
	s_add_u32 s6, s12, s16
	s_addc_u32 s7, s13, s17
	s_load_dwordx2 s[6:7], s[6:7], 0x0
	v_cmp_gt_i32_e32 vcc, s20, v0
	v_mov_b64_e32 v[2:3], 0
	s_mul_hi_i32 s13, s3, s2
	s_mul_i32 s12, s3, s2
	s_and_saveexec_b64 s[2:3], vcc
	s_cbranch_execz .LBB16_6
; %bb.1:
	s_load_dword s18, s[0:1], 0x18
	s_load_dwordx4 s[24:27], s[0:1], 0x8
	s_sub_i32 s0, 1, s20
	v_lshl_add_u32 v1, v0, 3, 0
	v_add_u32_e32 v1, 0x80, v1
	s_waitcnt lgkmcnt(0)
	s_ashr_i32 s19, s18, 31
	s_mul_i32 s21, s18, s0
	v_cmp_lt_i64_e64 s[0:1], s[18:19], 1
	s_and_b64 s[0:1], s[0:1], exec
	s_cselect_b32 s0, s21, 0
	s_ashr_i32 s1, s0, 31
	s_add_u32 s16, s24, s16
	s_addc_u32 s17, s25, s17
	s_load_dwordx2 s[16:17], s[16:17], 0x0
	v_mad_i64_i32 v[2:3], s[22:23], s18, v0, 0
	s_lshl_b64 s[22:23], s[26:27], 3
	s_lshl_b64 s[0:1], s[0:1], 3
	s_waitcnt lgkmcnt(0)
	s_add_u32 s0, s16, s0
	s_addc_u32 s1, s17, s1
	s_add_u32 s0, s0, s22
	s_addc_u32 s1, s1, s23
	v_lshl_add_u64 v[2:3], v[2:3], 3, s[0:1]
	s_lshl_b64 s[18:19], s[18:19], 13
	s_mov_b64 s[16:17], 0
	v_mov_b32_e32 v4, v1
	v_mov_b32_e32 v5, v0
.LBB16_2:                               ; =>This Inner Loop Header: Depth=1
	flat_load_dwordx2 v[6:7], v[2:3]
	v_add_u32_e32 v5, 0x400, v5
	v_cmp_le_i32_e64 s[0:1], s20, v5
	v_lshl_add_u64 v[2:3], v[2:3], 0, s[18:19]
	s_or_b64 s[16:17], s[0:1], s[16:17]
	s_waitcnt vmcnt(0) lgkmcnt(0)
	ds_write_b64 v4, v[6:7]
	v_add_u32_e32 v4, 0x2000, v4
	s_andn2_b64 exec, exec, s[16:17]
	s_cbranch_execnz .LBB16_2
; %bb.3:
	s_or_b64 exec, exec, s[16:17]
	s_lshl_b64 s[0:1], s[12:13], 3
	s_lshl_b64 s[16:17], s[14:15], 3
	s_add_u32 s0, s0, s16
	s_addc_u32 s1, s1, s17
	s_add_u32 s0, s6, s0
	v_lshlrev_b32_e32 v2, 3, v0
	v_mov_b32_e32 v3, 0
	s_addc_u32 s1, s7, s1
	v_lshl_add_u64 v[4:5], s[0:1], 0, v[2:3]
	v_mov_b64_e32 v[2:3], 0
	s_mov_b64 s[16:17], 0
	s_mov_b64 s[18:19], 0x2000
	v_mov_b32_e32 v6, v0
.LBB16_4:                               ; =>This Inner Loop Header: Depth=1
	flat_load_dwordx2 v[8:9], v[4:5]
	ds_read_b64 v[10:11], v1
	v_add_u32_e32 v6, 0x400, v6
	v_cmp_le_i32_e64 s[0:1], s20, v6
	v_add_u32_e32 v1, 0x2000, v1
	v_lshl_add_u64 v[4:5], v[4:5], 0, s[18:19]
	s_or_b64 s[16:17], s[0:1], s[16:17]
	s_waitcnt vmcnt(0) lgkmcnt(0)
	v_fmac_f64_e32 v[2:3], v[8:9], v[10:11]
	s_andn2_b64 exec, exec, s[16:17]
	s_cbranch_execnz .LBB16_4
; %bb.5:
	s_or_b64 exec, exec, s[16:17]
.LBB16_6:
	s_or_b64 exec, exec, s[2:3]
	v_mbcnt_lo_u32_b32 v1, -1, 0
	v_mbcnt_hi_u32_b32 v1, -1, v1
	v_and_b32_e32 v6, 63, v1
	v_cmp_ne_u32_e64 s[0:1], 63, v6
	s_nop 1
	v_addc_co_u32_e64 v4, s[0:1], 0, v1, s[0:1]
	v_lshlrev_b32_e32 v5, 2, v4
	ds_bpermute_b32 v4, v5, v2
	ds_bpermute_b32 v5, v5, v3
	v_cmp_gt_u32_e64 s[0:1], 62, v6
	s_waitcnt lgkmcnt(0)
	v_add_f64 v[2:3], v[2:3], v[4:5]
	v_cndmask_b32_e64 v4, 0, 2, s[0:1]
	v_add_lshl_u32 v5, v4, v1, 2
	ds_bpermute_b32 v4, v5, v2
	ds_bpermute_b32 v5, v5, v3
	v_cmp_gt_u32_e64 s[0:1], 60, v6
	s_waitcnt lgkmcnt(0)
	v_add_f64 v[2:3], v[2:3], v[4:5]
	v_cndmask_b32_e64 v4, 0, 4, s[0:1]
	v_add_lshl_u32 v5, v4, v1, 2
	;; [unrolled: 7-line block ×3, first 2 shown]
	ds_bpermute_b32 v4, v5, v2
	ds_bpermute_b32 v5, v5, v3
	v_cmp_gt_u32_e64 s[0:1], 48, v6
	v_mov_b32_e32 v6, 0x80
	s_waitcnt lgkmcnt(0)
	v_add_f64 v[2:3], v[2:3], v[4:5]
	v_cndmask_b32_e64 v4, 0, 16, s[0:1]
	v_add_lshl_u32 v5, v4, v1, 2
	ds_bpermute_b32 v4, v5, v2
	ds_bpermute_b32 v5, v5, v3
	v_lshl_or_b32 v1, v1, 2, v6
	s_waitcnt lgkmcnt(0)
	v_add_f64 v[2:3], v[2:3], v[4:5]
	ds_bpermute_b32 v4, v1, v2
	ds_bpermute_b32 v5, v1, v3
	v_and_b32_e32 v1, 63, v0
	v_cmp_eq_u32_e64 s[0:1], 0, v1
	s_waitcnt lgkmcnt(0)
	v_add_f64 v[2:3], v[2:3], v[4:5]
	s_and_saveexec_b64 s[2:3], s[0:1]
; %bb.7:
	v_lshrrev_b32_e32 v1, 3, v0
	v_add_u32_e32 v1, 0, v1
	ds_write_b64 v1, v[2:3]
; %bb.8:
	s_or_b64 exec, exec, s[2:3]
	v_cmp_eq_u32_e64 s[0:1], 0, v0
	s_waitcnt lgkmcnt(0)
	s_barrier
	s_and_saveexec_b64 s[2:3], s[0:1]
	s_cbranch_execz .LBB16_10
; %bb.9:
	v_mov_b32_e32 v1, 0
	ds_read2_b64 v[4:7], v1 offset0:1 offset1:2
	ds_read2_b64 v[8:11], v1 offset0:3 offset1:4
	ds_read2_b64 v[12:15], v1 offset0:5 offset1:6
	ds_read2_b64 v[16:19], v1 offset0:7 offset1:8
	ds_read2_b64 v[20:23], v1 offset0:9 offset1:10
	s_waitcnt lgkmcnt(4)
	v_add_f64 v[2:3], v[2:3], v[4:5]
	v_add_f64 v[2:3], v[2:3], v[6:7]
	s_waitcnt lgkmcnt(3)
	v_add_f64 v[2:3], v[2:3], v[8:9]
	v_add_f64 v[2:3], v[2:3], v[10:11]
	;; [unrolled: 3-line block ×4, first 2 shown]
	ds_read2_b64 v[2:5], v1 offset0:11 offset1:12
	s_waitcnt lgkmcnt(1)
	v_add_f64 v[10:11], v[6:7], v[20:21]
	ds_read2_b64 v[6:9], v1 offset0:13 offset1:14
	v_add_f64 v[10:11], v[10:11], v[22:23]
	ds_read_b64 v[12:13], v1 offset:120
	s_waitcnt lgkmcnt(2)
	v_add_f64 v[2:3], v[10:11], v[2:3]
	v_add_f64 v[2:3], v[2:3], v[4:5]
	s_waitcnt lgkmcnt(1)
	v_add_f64 v[2:3], v[2:3], v[6:7]
	v_add_f64 v[2:3], v[2:3], v[8:9]
	s_waitcnt lgkmcnt(0)
	v_add_f64 v[2:3], v[2:3], v[12:13]
	ds_write_b64 v1, v[2:3]
.LBB16_10:
	s_or_b64 exec, exec, s[2:3]
	s_waitcnt lgkmcnt(0)
	s_barrier
	s_and_saveexec_b64 s[0:1], vcc
	s_cbranch_execz .LBB16_13
; %bb.11:
	s_mul_i32 s0, s10, s5
	s_mul_hi_u32 s1, s10, s4
	s_add_i32 s0, s1, s0
	s_mul_i32 s1, s11, s4
	s_add_i32 s1, s0, s1
	s_mul_i32 s0, s10, s4
	s_lshl_b64 s[0:1], s[0:1], 3
	s_add_u32 s0, s8, s0
	s_addc_u32 s1, s9, s1
	v_mov_b32_e32 v5, 0
	s_load_dwordx2 s[0:1], s[0:1], 0x0
	ds_read_b64 v[2:3], v5
	s_lshl_b64 s[2:3], s[14:15], 3
	v_lshlrev_b32_e32 v4, 3, v0
	v_add_u32_e32 v1, 0, v4
	v_add_u32_e32 v1, 0x80, v1
	s_waitcnt lgkmcnt(0)
	v_mul_f64 v[2:3], v[2:3], -s[0:1]
	s_lshl_b64 s[0:1], s[12:13], 3
	s_add_u32 s0, s0, s2
	s_addc_u32 s1, s1, s3
	s_add_u32 s0, s6, s0
	s_addc_u32 s1, s7, s1
	v_lshl_add_u64 v[4:5], s[0:1], 0, v[4:5]
	s_mov_b64 s[0:1], 0
	s_mov_b64 s[2:3], 0x2000
.LBB16_12:                              ; =>This Inner Loop Header: Depth=1
	flat_load_dwordx2 v[6:7], v[4:5]
	ds_read_b64 v[8:9], v1
	v_add_u32_e32 v0, 0x400, v0
	v_cmp_le_i32_e32 vcc, s20, v0
	v_add_u32_e32 v1, 0x2000, v1
	s_or_b64 s[0:1], vcc, s[0:1]
	s_waitcnt vmcnt(0) lgkmcnt(0)
	v_fmac_f64_e32 v[6:7], v[2:3], v[8:9]
	flat_store_dwordx2 v[4:5], v[6:7]
	v_lshl_add_u64 v[4:5], v[4:5], 0, s[2:3]
	s_andn2_b64 exec, exec, s[0:1]
	s_cbranch_execnz .LBB16_12
.LBB16_13:
	s_endpgm
	.section	.rodata,"a",@progbits
	.p2align	6, 0x0
	.amdhsa_kernel _ZN9rocsolver6v33100L16larf_left_kernelILi1024EdiPKPdEEvT1_S5_T2_lS5_lPKT0_lS6_lS5_l
		.amdhsa_group_segment_fixed_size 0
		.amdhsa_private_segment_fixed_size 0
		.amdhsa_kernarg_size 88
		.amdhsa_user_sgpr_count 2
		.amdhsa_user_sgpr_dispatch_ptr 0
		.amdhsa_user_sgpr_queue_ptr 0
		.amdhsa_user_sgpr_kernarg_segment_ptr 1
		.amdhsa_user_sgpr_dispatch_id 0
		.amdhsa_user_sgpr_kernarg_preload_length 0
		.amdhsa_user_sgpr_kernarg_preload_offset 0
		.amdhsa_user_sgpr_private_segment_size 0
		.amdhsa_uses_dynamic_stack 0
		.amdhsa_enable_private_segment 0
		.amdhsa_system_sgpr_workgroup_id_x 1
		.amdhsa_system_sgpr_workgroup_id_y 1
		.amdhsa_system_sgpr_workgroup_id_z 1
		.amdhsa_system_sgpr_workgroup_info 0
		.amdhsa_system_vgpr_workitem_id 0
		.amdhsa_next_free_vgpr 24
		.amdhsa_next_free_sgpr 28
		.amdhsa_accum_offset 24
		.amdhsa_reserve_vcc 1
		.amdhsa_float_round_mode_32 0
		.amdhsa_float_round_mode_16_64 0
		.amdhsa_float_denorm_mode_32 3
		.amdhsa_float_denorm_mode_16_64 3
		.amdhsa_dx10_clamp 1
		.amdhsa_ieee_mode 1
		.amdhsa_fp16_overflow 0
		.amdhsa_tg_split 0
		.amdhsa_exception_fp_ieee_invalid_op 0
		.amdhsa_exception_fp_denorm_src 0
		.amdhsa_exception_fp_ieee_div_zero 0
		.amdhsa_exception_fp_ieee_overflow 0
		.amdhsa_exception_fp_ieee_underflow 0
		.amdhsa_exception_fp_ieee_inexact 0
		.amdhsa_exception_int_div_zero 0
	.end_amdhsa_kernel
	.section	.text._ZN9rocsolver6v33100L16larf_left_kernelILi1024EdiPKPdEEvT1_S5_T2_lS5_lPKT0_lS6_lS5_l,"axG",@progbits,_ZN9rocsolver6v33100L16larf_left_kernelILi1024EdiPKPdEEvT1_S5_T2_lS5_lPKT0_lS6_lS5_l,comdat
.Lfunc_end16:
	.size	_ZN9rocsolver6v33100L16larf_left_kernelILi1024EdiPKPdEEvT1_S5_T2_lS5_lPKT0_lS6_lS5_l, .Lfunc_end16-_ZN9rocsolver6v33100L16larf_left_kernelILi1024EdiPKPdEEvT1_S5_T2_lS5_lPKT0_lS6_lS5_l
                                        ; -- End function
	.set _ZN9rocsolver6v33100L16larf_left_kernelILi1024EdiPKPdEEvT1_S5_T2_lS5_lPKT0_lS6_lS5_l.num_vgpr, 24
	.set _ZN9rocsolver6v33100L16larf_left_kernelILi1024EdiPKPdEEvT1_S5_T2_lS5_lPKT0_lS6_lS5_l.num_agpr, 0
	.set _ZN9rocsolver6v33100L16larf_left_kernelILi1024EdiPKPdEEvT1_S5_T2_lS5_lPKT0_lS6_lS5_l.numbered_sgpr, 28
	.set _ZN9rocsolver6v33100L16larf_left_kernelILi1024EdiPKPdEEvT1_S5_T2_lS5_lPKT0_lS6_lS5_l.num_named_barrier, 0
	.set _ZN9rocsolver6v33100L16larf_left_kernelILi1024EdiPKPdEEvT1_S5_T2_lS5_lPKT0_lS6_lS5_l.private_seg_size, 0
	.set _ZN9rocsolver6v33100L16larf_left_kernelILi1024EdiPKPdEEvT1_S5_T2_lS5_lPKT0_lS6_lS5_l.uses_vcc, 1
	.set _ZN9rocsolver6v33100L16larf_left_kernelILi1024EdiPKPdEEvT1_S5_T2_lS5_lPKT0_lS6_lS5_l.uses_flat_scratch, 0
	.set _ZN9rocsolver6v33100L16larf_left_kernelILi1024EdiPKPdEEvT1_S5_T2_lS5_lPKT0_lS6_lS5_l.has_dyn_sized_stack, 0
	.set _ZN9rocsolver6v33100L16larf_left_kernelILi1024EdiPKPdEEvT1_S5_T2_lS5_lPKT0_lS6_lS5_l.has_recursion, 0
	.set _ZN9rocsolver6v33100L16larf_left_kernelILi1024EdiPKPdEEvT1_S5_T2_lS5_lPKT0_lS6_lS5_l.has_indirect_call, 0
	.section	.AMDGPU.csdata,"",@progbits
; Kernel info:
; codeLenInByte = 1260
; TotalNumSgprs: 34
; NumVgprs: 24
; NumAgprs: 0
; TotalNumVgprs: 24
; ScratchSize: 0
; MemoryBound: 0
; FloatMode: 240
; IeeeMode: 1
; LDSByteSize: 0 bytes/workgroup (compile time only)
; SGPRBlocks: 4
; VGPRBlocks: 2
; NumSGPRsForWavesPerEU: 34
; NumVGPRsForWavesPerEU: 24
; AccumOffset: 24
; Occupancy: 8
; WaveLimiterHint : 0
; COMPUTE_PGM_RSRC2:SCRATCH_EN: 0
; COMPUTE_PGM_RSRC2:USER_SGPR: 2
; COMPUTE_PGM_RSRC2:TRAP_HANDLER: 0
; COMPUTE_PGM_RSRC2:TGID_X_EN: 1
; COMPUTE_PGM_RSRC2:TGID_Y_EN: 1
; COMPUTE_PGM_RSRC2:TGID_Z_EN: 1
; COMPUTE_PGM_RSRC2:TIDIG_COMP_CNT: 0
; COMPUTE_PGM_RSRC3_GFX90A:ACCUM_OFFSET: 5
; COMPUTE_PGM_RSRC3_GFX90A:TG_SPLIT: 0
	.section	.text._ZN9rocsolver6v33100L17larf_right_kernelILi1024EdiPKPdEEvT1_S5_T2_lS5_lPKT0_lS6_lS5_l,"axG",@progbits,_ZN9rocsolver6v33100L17larf_right_kernelILi1024EdiPKPdEEvT1_S5_T2_lS5_lPKT0_lS6_lS5_l,comdat
	.globl	_ZN9rocsolver6v33100L17larf_right_kernelILi1024EdiPKPdEEvT1_S5_T2_lS5_lPKT0_lS6_lS5_l ; -- Begin function _ZN9rocsolver6v33100L17larf_right_kernelILi1024EdiPKPdEEvT1_S5_T2_lS5_lPKT0_lS6_lS5_l
	.p2align	8
	.type	_ZN9rocsolver6v33100L17larf_right_kernelILi1024EdiPKPdEEvT1_S5_T2_lS5_lPKT0_lS6_lS5_l,@function
_ZN9rocsolver6v33100L17larf_right_kernelILi1024EdiPKPdEEvT1_S5_T2_lS5_lPKT0_lS6_lS5_l: ; @_ZN9rocsolver6v33100L17larf_right_kernelILi1024EdiPKPdEEvT1_S5_T2_lS5_lPKT0_lS6_lS5_l
; %bb.0:
	s_load_dwordx8 s[8:15], s[0:1], 0x28
	s_load_dword s22, s[0:1], 0x4
	s_load_dword s6, s[0:1], 0x48
	s_ashr_i32 s5, s4, 31
	s_lshl_b64 s[18:19], s[4:5], 3
	s_waitcnt lgkmcnt(0)
	s_add_u32 s12, s12, s18
	s_addc_u32 s13, s13, s19
	s_load_dwordx2 s[12:13], s[12:13], 0x0
	s_mov_b32 s2, s3
	s_ashr_i32 s3, s3, 31
	v_cmp_gt_i32_e32 vcc, s22, v0
	v_mov_b64_e32 v[2:3], 0
	v_lshl_add_u32 v1, v0, 3, 0
	s_and_saveexec_b64 s[16:17], vcc
	s_cbranch_execz .LBB17_6
; %bb.1:
	s_load_dword s20, s[0:1], 0x18
	s_load_dwordx4 s[24:27], s[0:1], 0x8
	s_sub_i32 s0, 1, s22
	v_add_u32_e32 v6, 0x80, v1
	v_mov_b32_e32 v4, v6
	s_waitcnt lgkmcnt(0)
	s_ashr_i32 s21, s20, 31
	s_mul_i32 s7, s20, s0
	v_cmp_lt_i64_e64 s[0:1], s[20:21], 1
	s_and_b64 s[0:1], s[0:1], exec
	s_cselect_b32 s0, s7, 0
	s_ashr_i32 s1, s0, 31
	s_add_u32 s18, s24, s18
	s_addc_u32 s19, s25, s19
	s_load_dwordx2 s[18:19], s[18:19], 0x0
	v_mad_i64_i32 v[2:3], s[24:25], s20, v0, 0
	s_lshl_b64 s[24:25], s[26:27], 3
	s_lshl_b64 s[0:1], s[0:1], 3
	s_waitcnt lgkmcnt(0)
	s_add_u32 s0, s18, s0
	s_addc_u32 s1, s19, s1
	s_add_u32 s0, s0, s24
	s_addc_u32 s1, s1, s25
	v_lshl_add_u64 v[2:3], v[2:3], 3, s[0:1]
	s_lshl_b64 s[20:21], s[20:21], 13
	s_mov_b64 s[18:19], 0
	v_mov_b32_e32 v5, v0
.LBB17_2:                               ; =>This Inner Loop Header: Depth=1
	flat_load_dwordx2 v[8:9], v[2:3]
	v_add_u32_e32 v5, 0x400, v5
	v_cmp_le_i32_e64 s[0:1], s22, v5
	v_lshl_add_u64 v[2:3], v[2:3], 0, s[20:21]
	s_or_b64 s[18:19], s[0:1], s[18:19]
	s_waitcnt vmcnt(0) lgkmcnt(0)
	ds_write_b64 v4, v[8:9]
	v_add_u32_e32 v4, 0x2000, v4
	s_andn2_b64 exec, exec, s[18:19]
	s_cbranch_execnz .LBB17_2
; %bb.3:
	s_or_b64 exec, exec, s[18:19]
	v_mad_i64_i32 v[2:3], s[0:1], s6, v0, 0
	s_ashr_i32 s7, s6, 31
	s_lshl_b64 s[0:1], s[14:15], 3
	s_lshl_b64 s[18:19], s[2:3], 3
	s_add_u32 s18, s12, s18
	s_addc_u32 s19, s13, s19
	s_add_u32 s0, s18, s0
	s_addc_u32 s1, s19, s1
	v_lshl_add_u64 v[4:5], v[2:3], 3, s[0:1]
	s_lshl_b64 s[18:19], s[6:7], 13
	v_mov_b64_e32 v[2:3], 0
	s_mov_b64 s[20:21], 0
	v_mov_b32_e32 v7, v0
.LBB17_4:                               ; =>This Inner Loop Header: Depth=1
	flat_load_dwordx2 v[8:9], v[4:5]
	ds_read_b64 v[10:11], v6
	v_add_u32_e32 v7, 0x400, v7
	v_cmp_le_i32_e64 s[0:1], s22, v7
	v_add_u32_e32 v6, 0x2000, v6
	v_lshl_add_u64 v[4:5], v[4:5], 0, s[18:19]
	s_or_b64 s[20:21], s[0:1], s[20:21]
	s_waitcnt vmcnt(0) lgkmcnt(0)
	v_fmac_f64_e32 v[2:3], v[8:9], v[10:11]
	s_andn2_b64 exec, exec, s[20:21]
	s_cbranch_execnz .LBB17_4
; %bb.5:
	s_or_b64 exec, exec, s[20:21]
.LBB17_6:
	s_or_b64 exec, exec, s[16:17]
	v_mbcnt_lo_u32_b32 v4, -1, 0
	v_mbcnt_hi_u32_b32 v6, -1, v4
	v_and_b32_e32 v7, 63, v6
	v_cmp_ne_u32_e64 s[0:1], 63, v7
	s_nop 1
	v_addc_co_u32_e64 v4, s[0:1], 0, v6, s[0:1]
	v_lshlrev_b32_e32 v5, 2, v4
	ds_bpermute_b32 v4, v5, v2
	ds_bpermute_b32 v5, v5, v3
	v_cmp_gt_u32_e64 s[0:1], 62, v7
	s_waitcnt lgkmcnt(0)
	v_add_f64 v[2:3], v[2:3], v[4:5]
	v_cndmask_b32_e64 v4, 0, 2, s[0:1]
	v_add_lshl_u32 v5, v4, v6, 2
	ds_bpermute_b32 v4, v5, v2
	ds_bpermute_b32 v5, v5, v3
	v_cmp_gt_u32_e64 s[0:1], 60, v7
	s_waitcnt lgkmcnt(0)
	v_add_f64 v[2:3], v[2:3], v[4:5]
	v_cndmask_b32_e64 v4, 0, 4, s[0:1]
	v_add_lshl_u32 v5, v4, v6, 2
	;; [unrolled: 7-line block ×3, first 2 shown]
	ds_bpermute_b32 v4, v5, v2
	ds_bpermute_b32 v5, v5, v3
	v_cmp_gt_u32_e64 s[0:1], 48, v7
	v_mov_b32_e32 v7, 0x80
	s_waitcnt lgkmcnt(0)
	v_add_f64 v[2:3], v[2:3], v[4:5]
	v_cndmask_b32_e64 v4, 0, 16, s[0:1]
	v_add_lshl_u32 v5, v4, v6, 2
	ds_bpermute_b32 v4, v5, v2
	ds_bpermute_b32 v5, v5, v3
	s_waitcnt lgkmcnt(0)
	v_add_f64 v[2:3], v[2:3], v[4:5]
	v_lshl_or_b32 v5, v6, 2, v7
	ds_bpermute_b32 v4, v5, v2
	ds_bpermute_b32 v5, v5, v3
	v_and_b32_e32 v6, 63, v0
	v_cmp_eq_u32_e64 s[0:1], 0, v6
	s_waitcnt lgkmcnt(0)
	v_add_f64 v[2:3], v[2:3], v[4:5]
	s_and_saveexec_b64 s[16:17], s[0:1]
; %bb.7:
	v_lshrrev_b32_e32 v4, 3, v0
	v_add_u32_e32 v4, 0, v4
	ds_write_b64 v4, v[2:3]
; %bb.8:
	s_or_b64 exec, exec, s[16:17]
	v_cmp_eq_u32_e64 s[0:1], 0, v0
	s_waitcnt lgkmcnt(0)
	s_barrier
	s_and_saveexec_b64 s[16:17], s[0:1]
	s_cbranch_execz .LBB17_10
; %bb.9:
	v_mov_b32_e32 v24, 0
	ds_read2_b64 v[4:7], v24 offset0:1 offset1:2
	ds_read2_b64 v[8:11], v24 offset0:3 offset1:4
	;; [unrolled: 1-line block ×5, first 2 shown]
	s_waitcnt lgkmcnt(4)
	v_add_f64 v[2:3], v[2:3], v[4:5]
	v_add_f64 v[2:3], v[2:3], v[6:7]
	s_waitcnt lgkmcnt(3)
	v_add_f64 v[2:3], v[2:3], v[8:9]
	v_add_f64 v[2:3], v[2:3], v[10:11]
	;; [unrolled: 3-line block ×4, first 2 shown]
	ds_read2_b64 v[2:5], v24 offset0:11 offset1:12
	s_waitcnt lgkmcnt(1)
	v_add_f64 v[10:11], v[6:7], v[20:21]
	ds_read2_b64 v[6:9], v24 offset0:13 offset1:14
	v_add_f64 v[10:11], v[10:11], v[22:23]
	ds_read_b64 v[12:13], v24 offset:120
	s_waitcnt lgkmcnt(2)
	v_add_f64 v[2:3], v[10:11], v[2:3]
	v_add_f64 v[2:3], v[2:3], v[4:5]
	s_waitcnt lgkmcnt(1)
	v_add_f64 v[2:3], v[2:3], v[6:7]
	v_add_f64 v[2:3], v[2:3], v[8:9]
	s_waitcnt lgkmcnt(0)
	v_add_f64 v[2:3], v[2:3], v[12:13]
	ds_write_b64 v24, v[2:3]
.LBB17_10:
	s_or_b64 exec, exec, s[16:17]
	s_waitcnt lgkmcnt(0)
	s_barrier
	s_and_saveexec_b64 s[0:1], vcc
	s_cbranch_execz .LBB17_13
; %bb.11:
	s_mul_i32 s0, s10, s5
	s_mul_hi_u32 s1, s10, s4
	s_add_i32 s0, s1, s0
	s_mul_i32 s1, s11, s4
	s_add_i32 s1, s0, s1
	s_mul_i32 s0, s10, s4
	s_lshl_b64 s[0:1], s[0:1], 3
	s_add_u32 s0, s8, s0
	s_addc_u32 s1, s9, s1
	v_mov_b32_e32 v2, 0
	s_load_dwordx2 s[0:1], s[0:1], 0x0
	ds_read_b64 v[2:3], v2
	s_ashr_i32 s7, s6, 31
	s_lshl_b64 s[2:3], s[2:3], 3
	v_add_u32_e32 v1, 0x80, v1
	s_waitcnt lgkmcnt(0)
	v_mul_f64 v[2:3], v[2:3], -s[0:1]
	v_mad_i64_i32 v[4:5], s[0:1], s6, v0, 0
	s_lshl_b64 s[0:1], s[14:15], 3
	s_add_u32 s2, s12, s2
	s_addc_u32 s3, s13, s3
	s_add_u32 s0, s2, s0
	s_addc_u32 s1, s3, s1
	v_lshl_add_u64 v[4:5], v[4:5], 3, s[0:1]
	s_lshl_b64 s[0:1], s[6:7], 13
	s_mov_b64 s[2:3], 0
.LBB17_12:                              ; =>This Inner Loop Header: Depth=1
	flat_load_dwordx2 v[6:7], v[4:5]
	ds_read_b64 v[8:9], v1
	v_add_u32_e32 v0, 0x400, v0
	v_cmp_le_i32_e32 vcc, s22, v0
	v_add_u32_e32 v1, 0x2000, v1
	s_or_b64 s[2:3], vcc, s[2:3]
	s_waitcnt vmcnt(0) lgkmcnt(0)
	v_fmac_f64_e32 v[6:7], v[2:3], v[8:9]
	flat_store_dwordx2 v[4:5], v[6:7]
	v_lshl_add_u64 v[4:5], v[4:5], 0, s[0:1]
	s_andn2_b64 exec, exec, s[2:3]
	s_cbranch_execnz .LBB17_12
.LBB17_13:
	s_endpgm
	.section	.rodata,"a",@progbits
	.p2align	6, 0x0
	.amdhsa_kernel _ZN9rocsolver6v33100L17larf_right_kernelILi1024EdiPKPdEEvT1_S5_T2_lS5_lPKT0_lS6_lS5_l
		.amdhsa_group_segment_fixed_size 0
		.amdhsa_private_segment_fixed_size 0
		.amdhsa_kernarg_size 88
		.amdhsa_user_sgpr_count 2
		.amdhsa_user_sgpr_dispatch_ptr 0
		.amdhsa_user_sgpr_queue_ptr 0
		.amdhsa_user_sgpr_kernarg_segment_ptr 1
		.amdhsa_user_sgpr_dispatch_id 0
		.amdhsa_user_sgpr_kernarg_preload_length 0
		.amdhsa_user_sgpr_kernarg_preload_offset 0
		.amdhsa_user_sgpr_private_segment_size 0
		.amdhsa_uses_dynamic_stack 0
		.amdhsa_enable_private_segment 0
		.amdhsa_system_sgpr_workgroup_id_x 1
		.amdhsa_system_sgpr_workgroup_id_y 1
		.amdhsa_system_sgpr_workgroup_id_z 1
		.amdhsa_system_sgpr_workgroup_info 0
		.amdhsa_system_vgpr_workitem_id 0
		.amdhsa_next_free_vgpr 25
		.amdhsa_next_free_sgpr 28
		.amdhsa_accum_offset 28
		.amdhsa_reserve_vcc 1
		.amdhsa_float_round_mode_32 0
		.amdhsa_float_round_mode_16_64 0
		.amdhsa_float_denorm_mode_32 3
		.amdhsa_float_denorm_mode_16_64 3
		.amdhsa_dx10_clamp 1
		.amdhsa_ieee_mode 1
		.amdhsa_fp16_overflow 0
		.amdhsa_tg_split 0
		.amdhsa_exception_fp_ieee_invalid_op 0
		.amdhsa_exception_fp_denorm_src 0
		.amdhsa_exception_fp_ieee_div_zero 0
		.amdhsa_exception_fp_ieee_overflow 0
		.amdhsa_exception_fp_ieee_underflow 0
		.amdhsa_exception_fp_ieee_inexact 0
		.amdhsa_exception_int_div_zero 0
	.end_amdhsa_kernel
	.section	.text._ZN9rocsolver6v33100L17larf_right_kernelILi1024EdiPKPdEEvT1_S5_T2_lS5_lPKT0_lS6_lS5_l,"axG",@progbits,_ZN9rocsolver6v33100L17larf_right_kernelILi1024EdiPKPdEEvT1_S5_T2_lS5_lPKT0_lS6_lS5_l,comdat
.Lfunc_end17:
	.size	_ZN9rocsolver6v33100L17larf_right_kernelILi1024EdiPKPdEEvT1_S5_T2_lS5_lPKT0_lS6_lS5_l, .Lfunc_end17-_ZN9rocsolver6v33100L17larf_right_kernelILi1024EdiPKPdEEvT1_S5_T2_lS5_lPKT0_lS6_lS5_l
                                        ; -- End function
	.set _ZN9rocsolver6v33100L17larf_right_kernelILi1024EdiPKPdEEvT1_S5_T2_lS5_lPKT0_lS6_lS5_l.num_vgpr, 25
	.set _ZN9rocsolver6v33100L17larf_right_kernelILi1024EdiPKPdEEvT1_S5_T2_lS5_lPKT0_lS6_lS5_l.num_agpr, 0
	.set _ZN9rocsolver6v33100L17larf_right_kernelILi1024EdiPKPdEEvT1_S5_T2_lS5_lPKT0_lS6_lS5_l.numbered_sgpr, 28
	.set _ZN9rocsolver6v33100L17larf_right_kernelILi1024EdiPKPdEEvT1_S5_T2_lS5_lPKT0_lS6_lS5_l.num_named_barrier, 0
	.set _ZN9rocsolver6v33100L17larf_right_kernelILi1024EdiPKPdEEvT1_S5_T2_lS5_lPKT0_lS6_lS5_l.private_seg_size, 0
	.set _ZN9rocsolver6v33100L17larf_right_kernelILi1024EdiPKPdEEvT1_S5_T2_lS5_lPKT0_lS6_lS5_l.uses_vcc, 1
	.set _ZN9rocsolver6v33100L17larf_right_kernelILi1024EdiPKPdEEvT1_S5_T2_lS5_lPKT0_lS6_lS5_l.uses_flat_scratch, 0
	.set _ZN9rocsolver6v33100L17larf_right_kernelILi1024EdiPKPdEEvT1_S5_T2_lS5_lPKT0_lS6_lS5_l.has_dyn_sized_stack, 0
	.set _ZN9rocsolver6v33100L17larf_right_kernelILi1024EdiPKPdEEvT1_S5_T2_lS5_lPKT0_lS6_lS5_l.has_recursion, 0
	.set _ZN9rocsolver6v33100L17larf_right_kernelILi1024EdiPKPdEEvT1_S5_T2_lS5_lPKT0_lS6_lS5_l.has_indirect_call, 0
	.section	.AMDGPU.csdata,"",@progbits
; Kernel info:
; codeLenInByte = 1260
; TotalNumSgprs: 34
; NumVgprs: 25
; NumAgprs: 0
; TotalNumVgprs: 25
; ScratchSize: 0
; MemoryBound: 0
; FloatMode: 240
; IeeeMode: 1
; LDSByteSize: 0 bytes/workgroup (compile time only)
; SGPRBlocks: 4
; VGPRBlocks: 3
; NumSGPRsForWavesPerEU: 34
; NumVGPRsForWavesPerEU: 25
; AccumOffset: 28
; Occupancy: 8
; WaveLimiterHint : 0
; COMPUTE_PGM_RSRC2:SCRATCH_EN: 0
; COMPUTE_PGM_RSRC2:USER_SGPR: 2
; COMPUTE_PGM_RSRC2:TRAP_HANDLER: 0
; COMPUTE_PGM_RSRC2:TGID_X_EN: 1
; COMPUTE_PGM_RSRC2:TGID_Y_EN: 1
; COMPUTE_PGM_RSRC2:TGID_Z_EN: 1
; COMPUTE_PGM_RSRC2:TIDIG_COMP_CNT: 0
; COMPUTE_PGM_RSRC3_GFX90A:ACCUM_OFFSET: 6
; COMPUTE_PGM_RSRC3_GFX90A:TG_SPLIT: 0
	.section	.text._ZN9rocsolver6v33100L9get_arrayIdiEEvPPT_S3_lT0_,"axG",@progbits,_ZN9rocsolver6v33100L9get_arrayIdiEEvPPT_S3_lT0_,comdat
	.globl	_ZN9rocsolver6v33100L9get_arrayIdiEEvPPT_S3_lT0_ ; -- Begin function _ZN9rocsolver6v33100L9get_arrayIdiEEvPPT_S3_lT0_
	.p2align	8
	.type	_ZN9rocsolver6v33100L9get_arrayIdiEEvPPT_S3_lT0_,@function
_ZN9rocsolver6v33100L9get_arrayIdiEEvPPT_S3_lT0_: ; @_ZN9rocsolver6v33100L9get_arrayIdiEEvPPT_S3_lT0_
; %bb.0:
	s_load_dword s3, s[0:1], 0x2c
	s_load_dword s4, s[0:1], 0x18
	s_waitcnt lgkmcnt(0)
	s_and_b32 s3, s3, 0xffff
	s_mul_i32 s2, s2, s3
	v_add_u32_e32 v0, s2, v0
	v_cmp_gt_i32_e32 vcc, s4, v0
	s_and_saveexec_b64 s[2:3], vcc
	s_cbranch_execz .LBB18_2
; %bb.1:
	s_load_dwordx4 s[4:7], s[0:1], 0x0
	s_load_dwordx2 s[2:3], s[0:1], 0x10
	v_ashrrev_i32_e32 v1, 31, v0
	s_waitcnt lgkmcnt(0)
	v_mov_b32_e32 v2, s4
	v_mul_lo_u32 v8, s3, v0
	v_mul_lo_u32 v9, s2, v1
	v_mad_u64_u32 v[6:7], s[0:1], s2, v0, 0
	v_mov_b32_e32 v3, s5
	v_mov_b32_e32 v4, s6
	;; [unrolled: 1-line block ×3, first 2 shown]
	v_add3_u32 v7, v7, v9, v8
	v_lshl_add_u64 v[4:5], v[6:7], 3, v[4:5]
	v_lshl_add_u64 v[0:1], v[0:1], 3, v[2:3]
	global_store_dwordx2 v[0:1], v[4:5], off
.LBB18_2:
	s_endpgm
	.section	.rodata,"a",@progbits
	.p2align	6, 0x0
	.amdhsa_kernel _ZN9rocsolver6v33100L9get_arrayIdiEEvPPT_S3_lT0_
		.amdhsa_group_segment_fixed_size 0
		.amdhsa_private_segment_fixed_size 0
		.amdhsa_kernarg_size 288
		.amdhsa_user_sgpr_count 2
		.amdhsa_user_sgpr_dispatch_ptr 0
		.amdhsa_user_sgpr_queue_ptr 0
		.amdhsa_user_sgpr_kernarg_segment_ptr 1
		.amdhsa_user_sgpr_dispatch_id 0
		.amdhsa_user_sgpr_kernarg_preload_length 0
		.amdhsa_user_sgpr_kernarg_preload_offset 0
		.amdhsa_user_sgpr_private_segment_size 0
		.amdhsa_uses_dynamic_stack 0
		.amdhsa_enable_private_segment 0
		.amdhsa_system_sgpr_workgroup_id_x 1
		.amdhsa_system_sgpr_workgroup_id_y 0
		.amdhsa_system_sgpr_workgroup_id_z 0
		.amdhsa_system_sgpr_workgroup_info 0
		.amdhsa_system_vgpr_workitem_id 0
		.amdhsa_next_free_vgpr 10
		.amdhsa_next_free_sgpr 8
		.amdhsa_accum_offset 12
		.amdhsa_reserve_vcc 1
		.amdhsa_float_round_mode_32 0
		.amdhsa_float_round_mode_16_64 0
		.amdhsa_float_denorm_mode_32 3
		.amdhsa_float_denorm_mode_16_64 3
		.amdhsa_dx10_clamp 1
		.amdhsa_ieee_mode 1
		.amdhsa_fp16_overflow 0
		.amdhsa_tg_split 0
		.amdhsa_exception_fp_ieee_invalid_op 0
		.amdhsa_exception_fp_denorm_src 0
		.amdhsa_exception_fp_ieee_div_zero 0
		.amdhsa_exception_fp_ieee_overflow 0
		.amdhsa_exception_fp_ieee_underflow 0
		.amdhsa_exception_fp_ieee_inexact 0
		.amdhsa_exception_int_div_zero 0
	.end_amdhsa_kernel
	.section	.text._ZN9rocsolver6v33100L9get_arrayIdiEEvPPT_S3_lT0_,"axG",@progbits,_ZN9rocsolver6v33100L9get_arrayIdiEEvPPT_S3_lT0_,comdat
.Lfunc_end18:
	.size	_ZN9rocsolver6v33100L9get_arrayIdiEEvPPT_S3_lT0_, .Lfunc_end18-_ZN9rocsolver6v33100L9get_arrayIdiEEvPPT_S3_lT0_
                                        ; -- End function
	.set _ZN9rocsolver6v33100L9get_arrayIdiEEvPPT_S3_lT0_.num_vgpr, 10
	.set _ZN9rocsolver6v33100L9get_arrayIdiEEvPPT_S3_lT0_.num_agpr, 0
	.set _ZN9rocsolver6v33100L9get_arrayIdiEEvPPT_S3_lT0_.numbered_sgpr, 8
	.set _ZN9rocsolver6v33100L9get_arrayIdiEEvPPT_S3_lT0_.num_named_barrier, 0
	.set _ZN9rocsolver6v33100L9get_arrayIdiEEvPPT_S3_lT0_.private_seg_size, 0
	.set _ZN9rocsolver6v33100L9get_arrayIdiEEvPPT_S3_lT0_.uses_vcc, 1
	.set _ZN9rocsolver6v33100L9get_arrayIdiEEvPPT_S3_lT0_.uses_flat_scratch, 0
	.set _ZN9rocsolver6v33100L9get_arrayIdiEEvPPT_S3_lT0_.has_dyn_sized_stack, 0
	.set _ZN9rocsolver6v33100L9get_arrayIdiEEvPPT_S3_lT0_.has_recursion, 0
	.set _ZN9rocsolver6v33100L9get_arrayIdiEEvPPT_S3_lT0_.has_indirect_call, 0
	.section	.AMDGPU.csdata,"",@progbits
; Kernel info:
; codeLenInByte = 148
; TotalNumSgprs: 14
; NumVgprs: 10
; NumAgprs: 0
; TotalNumVgprs: 10
; ScratchSize: 0
; MemoryBound: 0
; FloatMode: 240
; IeeeMode: 1
; LDSByteSize: 0 bytes/workgroup (compile time only)
; SGPRBlocks: 1
; VGPRBlocks: 1
; NumSGPRsForWavesPerEU: 14
; NumVGPRsForWavesPerEU: 10
; AccumOffset: 12
; Occupancy: 8
; WaveLimiterHint : 0
; COMPUTE_PGM_RSRC2:SCRATCH_EN: 0
; COMPUTE_PGM_RSRC2:USER_SGPR: 2
; COMPUTE_PGM_RSRC2:TRAP_HANDLER: 0
; COMPUTE_PGM_RSRC2:TGID_X_EN: 1
; COMPUTE_PGM_RSRC2:TGID_Y_EN: 0
; COMPUTE_PGM_RSRC2:TGID_Z_EN: 0
; COMPUTE_PGM_RSRC2:TIDIG_COMP_CNT: 0
; COMPUTE_PGM_RSRC3_GFX90A:ACCUM_OFFSET: 2
; COMPUTE_PGM_RSRC3_GFX90A:TG_SPLIT: 0
	.section	.text._ZN9rocsolver6v33100L12restore_diagIdidPKPdEEvPT1_llT2_lT0_lS8_,"axG",@progbits,_ZN9rocsolver6v33100L12restore_diagIdidPKPdEEvPT1_llT2_lT0_lS8_,comdat
	.globl	_ZN9rocsolver6v33100L12restore_diagIdidPKPdEEvPT1_llT2_lT0_lS8_ ; -- Begin function _ZN9rocsolver6v33100L12restore_diagIdidPKPdEEvPT1_llT2_lT0_lS8_
	.p2align	8
	.type	_ZN9rocsolver6v33100L12restore_diagIdidPKPdEEvPT1_llT2_lT0_lS8_,@function
_ZN9rocsolver6v33100L12restore_diagIdidPKPdEEvPT1_llT2_lT0_lS8_: ; @_ZN9rocsolver6v33100L12restore_diagIdidPKPdEEvPT1_llT2_lT0_lS8_
; %bb.0:
	s_load_dword s4, s[0:1], 0x4c
	s_load_dword s5, s[0:1], 0x38
	v_bfe_u32 v0, v0, 10, 10
	s_waitcnt lgkmcnt(0)
	s_lshr_b32 s4, s4, 16
	s_mul_i32 s3, s3, s4
	v_add_u32_e32 v0, s3, v0
	v_cmp_gt_i32_e32 vcc, s5, v0
	s_and_saveexec_b64 s[4:5], vcc
	s_cbranch_execz .LBB19_2
; %bb.1:
	s_load_dwordx8 s[4:11], s[0:1], 0x0
	s_load_dwordx2 s[12:13], s[0:1], 0x20
	s_ashr_i32 s3, s2, 31
	s_lshl_b64 s[14:15], s[2:3], 3
	s_waitcnt lgkmcnt(0)
	s_add_u32 s10, s10, s14
	s_addc_u32 s11, s11, s15
	s_load_dwordx2 s[14:15], s[10:11], 0x0
	s_load_dword s16, s[0:1], 0x28
	s_lshl_b64 s[0:1], s[12:13], 3
	s_mul_hi_u32 s10, s8, s2
	s_mul_i32 s3, s8, s3
	s_waitcnt lgkmcnt(0)
	s_add_u32 s0, s14, s0
	s_addc_u32 s1, s15, s1
	s_add_i32 s3, s10, s3
	s_mul_i32 s9, s9, s2
	s_add_i32 s3, s3, s9
	s_mul_i32 s2, s8, s2
	s_lshl_b64 s[2:3], s[2:3], 3
	s_add_u32 s4, s4, s2
	s_addc_u32 s5, s5, s3
	s_lshl_b64 s[2:3], s[6:7], 3
	s_add_u32 s2, s4, s2
	s_addc_u32 s3, s5, s3
	v_mad_u64_u32 v[2:3], s[4:5], v0, s16, v[0:1]
	v_ashrrev_i32_e32 v1, 31, v0
	v_lshl_add_u64 v[0:1], v[0:1], 3, s[2:3]
	global_load_dwordx2 v[0:1], v[0:1], off
	v_ashrrev_i32_e32 v3, 31, v2
	v_lshl_add_u64 v[2:3], v[2:3], 3, s[0:1]
	s_waitcnt vmcnt(0)
	flat_store_dwordx2 v[2:3], v[0:1]
.LBB19_2:
	s_endpgm
	.section	.rodata,"a",@progbits
	.p2align	6, 0x0
	.amdhsa_kernel _ZN9rocsolver6v33100L12restore_diagIdidPKPdEEvPT1_llT2_lT0_lS8_
		.amdhsa_group_segment_fixed_size 0
		.amdhsa_private_segment_fixed_size 0
		.amdhsa_kernarg_size 320
		.amdhsa_user_sgpr_count 2
		.amdhsa_user_sgpr_dispatch_ptr 0
		.amdhsa_user_sgpr_queue_ptr 0
		.amdhsa_user_sgpr_kernarg_segment_ptr 1
		.amdhsa_user_sgpr_dispatch_id 0
		.amdhsa_user_sgpr_kernarg_preload_length 0
		.amdhsa_user_sgpr_kernarg_preload_offset 0
		.amdhsa_user_sgpr_private_segment_size 0
		.amdhsa_uses_dynamic_stack 0
		.amdhsa_enable_private_segment 0
		.amdhsa_system_sgpr_workgroup_id_x 1
		.amdhsa_system_sgpr_workgroup_id_y 1
		.amdhsa_system_sgpr_workgroup_id_z 0
		.amdhsa_system_sgpr_workgroup_info 0
		.amdhsa_system_vgpr_workitem_id 1
		.amdhsa_next_free_vgpr 4
		.amdhsa_next_free_sgpr 17
		.amdhsa_accum_offset 4
		.amdhsa_reserve_vcc 1
		.amdhsa_float_round_mode_32 0
		.amdhsa_float_round_mode_16_64 0
		.amdhsa_float_denorm_mode_32 3
		.amdhsa_float_denorm_mode_16_64 3
		.amdhsa_dx10_clamp 1
		.amdhsa_ieee_mode 1
		.amdhsa_fp16_overflow 0
		.amdhsa_tg_split 0
		.amdhsa_exception_fp_ieee_invalid_op 0
		.amdhsa_exception_fp_denorm_src 0
		.amdhsa_exception_fp_ieee_div_zero 0
		.amdhsa_exception_fp_ieee_overflow 0
		.amdhsa_exception_fp_ieee_underflow 0
		.amdhsa_exception_fp_ieee_inexact 0
		.amdhsa_exception_int_div_zero 0
	.end_amdhsa_kernel
	.section	.text._ZN9rocsolver6v33100L12restore_diagIdidPKPdEEvPT1_llT2_lT0_lS8_,"axG",@progbits,_ZN9rocsolver6v33100L12restore_diagIdidPKPdEEvPT1_llT2_lT0_lS8_,comdat
.Lfunc_end19:
	.size	_ZN9rocsolver6v33100L12restore_diagIdidPKPdEEvPT1_llT2_lT0_lS8_, .Lfunc_end19-_ZN9rocsolver6v33100L12restore_diagIdidPKPdEEvPT1_llT2_lT0_lS8_
                                        ; -- End function
	.set _ZN9rocsolver6v33100L12restore_diagIdidPKPdEEvPT1_llT2_lT0_lS8_.num_vgpr, 4
	.set _ZN9rocsolver6v33100L12restore_diagIdidPKPdEEvPT1_llT2_lT0_lS8_.num_agpr, 0
	.set _ZN9rocsolver6v33100L12restore_diagIdidPKPdEEvPT1_llT2_lT0_lS8_.numbered_sgpr, 17
	.set _ZN9rocsolver6v33100L12restore_diagIdidPKPdEEvPT1_llT2_lT0_lS8_.num_named_barrier, 0
	.set _ZN9rocsolver6v33100L12restore_diagIdidPKPdEEvPT1_llT2_lT0_lS8_.private_seg_size, 0
	.set _ZN9rocsolver6v33100L12restore_diagIdidPKPdEEvPT1_llT2_lT0_lS8_.uses_vcc, 1
	.set _ZN9rocsolver6v33100L12restore_diagIdidPKPdEEvPT1_llT2_lT0_lS8_.uses_flat_scratch, 0
	.set _ZN9rocsolver6v33100L12restore_diagIdidPKPdEEvPT1_llT2_lT0_lS8_.has_dyn_sized_stack, 0
	.set _ZN9rocsolver6v33100L12restore_diagIdidPKPdEEvPT1_llT2_lT0_lS8_.has_recursion, 0
	.set _ZN9rocsolver6v33100L12restore_diagIdidPKPdEEvPT1_llT2_lT0_lS8_.has_indirect_call, 0
	.section	.AMDGPU.csdata,"",@progbits
; Kernel info:
; codeLenInByte = 224
; TotalNumSgprs: 23
; NumVgprs: 4
; NumAgprs: 0
; TotalNumVgprs: 4
; ScratchSize: 0
; MemoryBound: 0
; FloatMode: 240
; IeeeMode: 1
; LDSByteSize: 0 bytes/workgroup (compile time only)
; SGPRBlocks: 2
; VGPRBlocks: 0
; NumSGPRsForWavesPerEU: 23
; NumVGPRsForWavesPerEU: 4
; AccumOffset: 4
; Occupancy: 8
; WaveLimiterHint : 1
; COMPUTE_PGM_RSRC2:SCRATCH_EN: 0
; COMPUTE_PGM_RSRC2:USER_SGPR: 2
; COMPUTE_PGM_RSRC2:TRAP_HANDLER: 0
; COMPUTE_PGM_RSRC2:TGID_X_EN: 1
; COMPUTE_PGM_RSRC2:TGID_Y_EN: 1
; COMPUTE_PGM_RSRC2:TGID_Z_EN: 0
; COMPUTE_PGM_RSRC2:TIDIG_COMP_CNT: 1
; COMPUTE_PGM_RSRC3_GFX90A:ACCUM_OFFSET: 0
; COMPUTE_PGM_RSRC3_GFX90A:TG_SPLIT: 0
	.section	.text._ZN9rocsolver6v33100L6iota_nI19rocblas_complex_numIfEEEvPT_jS4_,"axG",@progbits,_ZN9rocsolver6v33100L6iota_nI19rocblas_complex_numIfEEEvPT_jS4_,comdat
	.globl	_ZN9rocsolver6v33100L6iota_nI19rocblas_complex_numIfEEEvPT_jS4_ ; -- Begin function _ZN9rocsolver6v33100L6iota_nI19rocblas_complex_numIfEEEvPT_jS4_
	.p2align	8
	.type	_ZN9rocsolver6v33100L6iota_nI19rocblas_complex_numIfEEEvPT_jS4_,@function
_ZN9rocsolver6v33100L6iota_nI19rocblas_complex_numIfEEEvPT_jS4_: ; @_ZN9rocsolver6v33100L6iota_nI19rocblas_complex_numIfEEEvPT_jS4_
; %bb.0:
	s_load_dword s2, s[0:1], 0x8
	s_waitcnt lgkmcnt(0)
	v_cmp_gt_u32_e32 vcc, s2, v0
	s_and_saveexec_b64 s[2:3], vcc
	s_cbranch_execz .LBB20_2
; %bb.1:
	s_load_dwordx2 s[2:3], s[0:1], 0xc
	s_load_dwordx2 s[4:5], s[0:1], 0x0
	v_cvt_f32_ubyte0_e32 v2, v0
	v_mov_b32_e32 v3, 0
	v_lshlrev_b32_e32 v4, 3, v0
	s_waitcnt lgkmcnt(0)
	v_pk_add_f32 v[0:1], s[2:3], v[2:3]
	global_store_dwordx2 v4, v[0:1], s[4:5]
.LBB20_2:
	s_endpgm
	.section	.rodata,"a",@progbits
	.p2align	6, 0x0
	.amdhsa_kernel _ZN9rocsolver6v33100L6iota_nI19rocblas_complex_numIfEEEvPT_jS4_
		.amdhsa_group_segment_fixed_size 0
		.amdhsa_private_segment_fixed_size 0
		.amdhsa_kernarg_size 20
		.amdhsa_user_sgpr_count 2
		.amdhsa_user_sgpr_dispatch_ptr 0
		.amdhsa_user_sgpr_queue_ptr 0
		.amdhsa_user_sgpr_kernarg_segment_ptr 1
		.amdhsa_user_sgpr_dispatch_id 0
		.amdhsa_user_sgpr_kernarg_preload_length 0
		.amdhsa_user_sgpr_kernarg_preload_offset 0
		.amdhsa_user_sgpr_private_segment_size 0
		.amdhsa_uses_dynamic_stack 0
		.amdhsa_enable_private_segment 0
		.amdhsa_system_sgpr_workgroup_id_x 1
		.amdhsa_system_sgpr_workgroup_id_y 0
		.amdhsa_system_sgpr_workgroup_id_z 0
		.amdhsa_system_sgpr_workgroup_info 0
		.amdhsa_system_vgpr_workitem_id 0
		.amdhsa_next_free_vgpr 5
		.amdhsa_next_free_sgpr 6
		.amdhsa_accum_offset 8
		.amdhsa_reserve_vcc 1
		.amdhsa_float_round_mode_32 0
		.amdhsa_float_round_mode_16_64 0
		.amdhsa_float_denorm_mode_32 3
		.amdhsa_float_denorm_mode_16_64 3
		.amdhsa_dx10_clamp 1
		.amdhsa_ieee_mode 1
		.amdhsa_fp16_overflow 0
		.amdhsa_tg_split 0
		.amdhsa_exception_fp_ieee_invalid_op 0
		.amdhsa_exception_fp_denorm_src 0
		.amdhsa_exception_fp_ieee_div_zero 0
		.amdhsa_exception_fp_ieee_overflow 0
		.amdhsa_exception_fp_ieee_underflow 0
		.amdhsa_exception_fp_ieee_inexact 0
		.amdhsa_exception_int_div_zero 0
	.end_amdhsa_kernel
	.section	.text._ZN9rocsolver6v33100L6iota_nI19rocblas_complex_numIfEEEvPT_jS4_,"axG",@progbits,_ZN9rocsolver6v33100L6iota_nI19rocblas_complex_numIfEEEvPT_jS4_,comdat
.Lfunc_end20:
	.size	_ZN9rocsolver6v33100L6iota_nI19rocblas_complex_numIfEEEvPT_jS4_, .Lfunc_end20-_ZN9rocsolver6v33100L6iota_nI19rocblas_complex_numIfEEEvPT_jS4_
                                        ; -- End function
	.set _ZN9rocsolver6v33100L6iota_nI19rocblas_complex_numIfEEEvPT_jS4_.num_vgpr, 5
	.set _ZN9rocsolver6v33100L6iota_nI19rocblas_complex_numIfEEEvPT_jS4_.num_agpr, 0
	.set _ZN9rocsolver6v33100L6iota_nI19rocblas_complex_numIfEEEvPT_jS4_.numbered_sgpr, 6
	.set _ZN9rocsolver6v33100L6iota_nI19rocblas_complex_numIfEEEvPT_jS4_.num_named_barrier, 0
	.set _ZN9rocsolver6v33100L6iota_nI19rocblas_complex_numIfEEEvPT_jS4_.private_seg_size, 0
	.set _ZN9rocsolver6v33100L6iota_nI19rocblas_complex_numIfEEEvPT_jS4_.uses_vcc, 1
	.set _ZN9rocsolver6v33100L6iota_nI19rocblas_complex_numIfEEEvPT_jS4_.uses_flat_scratch, 0
	.set _ZN9rocsolver6v33100L6iota_nI19rocblas_complex_numIfEEEvPT_jS4_.has_dyn_sized_stack, 0
	.set _ZN9rocsolver6v33100L6iota_nI19rocblas_complex_numIfEEEvPT_jS4_.has_recursion, 0
	.set _ZN9rocsolver6v33100L6iota_nI19rocblas_complex_numIfEEEvPT_jS4_.has_indirect_call, 0
	.section	.AMDGPU.csdata,"",@progbits
; Kernel info:
; codeLenInByte = 76
; TotalNumSgprs: 12
; NumVgprs: 5
; NumAgprs: 0
; TotalNumVgprs: 5
; ScratchSize: 0
; MemoryBound: 0
; FloatMode: 240
; IeeeMode: 1
; LDSByteSize: 0 bytes/workgroup (compile time only)
; SGPRBlocks: 1
; VGPRBlocks: 0
; NumSGPRsForWavesPerEU: 12
; NumVGPRsForWavesPerEU: 5
; AccumOffset: 8
; Occupancy: 8
; WaveLimiterHint : 0
; COMPUTE_PGM_RSRC2:SCRATCH_EN: 0
; COMPUTE_PGM_RSRC2:USER_SGPR: 2
; COMPUTE_PGM_RSRC2:TRAP_HANDLER: 0
; COMPUTE_PGM_RSRC2:TGID_X_EN: 1
; COMPUTE_PGM_RSRC2:TGID_Y_EN: 0
; COMPUTE_PGM_RSRC2:TGID_Z_EN: 0
; COMPUTE_PGM_RSRC2:TIDIG_COMP_CNT: 0
; COMPUTE_PGM_RSRC3_GFX90A:ACCUM_OFFSET: 1
; COMPUTE_PGM_RSRC3_GFX90A:TG_SPLIT: 0
	.section	.text._ZN9rocsolver6v33100L18geqr2_kernel_smallILi256E19rocblas_complex_numIfEifPKPS3_EEvT1_S7_T3_lS7_lPT2_lPT0_l,"axG",@progbits,_ZN9rocsolver6v33100L18geqr2_kernel_smallILi256E19rocblas_complex_numIfEifPKPS3_EEvT1_S7_T3_lS7_lPT2_lPT0_l,comdat
	.globl	_ZN9rocsolver6v33100L18geqr2_kernel_smallILi256E19rocblas_complex_numIfEifPKPS3_EEvT1_S7_T3_lS7_lPT2_lPT0_l ; -- Begin function _ZN9rocsolver6v33100L18geqr2_kernel_smallILi256E19rocblas_complex_numIfEifPKPS3_EEvT1_S7_T3_lS7_lPT2_lPT0_l
	.p2align	8
	.type	_ZN9rocsolver6v33100L18geqr2_kernel_smallILi256E19rocblas_complex_numIfEifPKPS3_EEvT1_S7_T3_lS7_lPT2_lPT0_l,@function
_ZN9rocsolver6v33100L18geqr2_kernel_smallILi256E19rocblas_complex_numIfEifPKPS3_EEvT1_S7_T3_lS7_lPT2_lPT0_l: ; @_ZN9rocsolver6v33100L18geqr2_kernel_smallILi256E19rocblas_complex_numIfEifPKPS3_EEvT1_S7_T3_lS7_lPT2_lPT0_l
; %bb.0:
	s_load_dwordx4 s[12:15], s[0:1], 0x8
	s_mov_b32 s4, s3
	s_ashr_i32 s5, s3, 31
	s_lshl_b64 s[2:3], s[4:5], 3
	v_and_b32_e32 v2, 0x7f, v0
	s_waitcnt lgkmcnt(0)
	s_add_u32 s2, s12, s2
	s_addc_u32 s3, s13, s3
	s_load_dwordx2 s[6:7], s[2:3], 0x0
	s_load_dwordx2 s[10:11], s[0:1], 0x0
	s_load_dword s26, s[0:1], 0x18
	s_lshl_b64 s[2:3], s[14:15], 3
	v_lshrrev_b32_e32 v3, 7, v0
	s_waitcnt lgkmcnt(0)
	s_add_u32 s20, s6, s2
	s_addc_u32 s21, s7, s3
	v_cmp_gt_i32_e64 s[8:9], s10, v2
	v_lshlrev_b32_e32 v10, 3, v2
	s_and_saveexec_b64 s[6:7], s[8:9]
	s_cbranch_execz .LBB21_6
; %bb.1:
	v_lshrrev_b32_e32 v1, 7, v0
	v_mul_lo_u32 v4, s10, v1
	v_lshlrev_b32_e32 v4, 3, v4
	v_add3_u32 v8, v4, v10, 0
	v_mad_u64_u32 v[4:5], s[2:3], s26, v1, v[2:3]
	v_cmp_gt_i32_e32 vcc, s11, v1
	s_lshl_b32 s18, s10, 4
	s_lshl_b32 s19, s26, 1
	s_mov_b64 s[12:13], 0
	v_mov_b32_e32 v5, v2
	s_branch .LBB21_3
.LBB21_2:                               ;   in Loop: Header=BB21_3 Depth=1
	s_or_b64 exec, exec, s[14:15]
	v_add_u32_e32 v5, 0x80, v5
	v_cmp_le_i32_e64 s[2:3], s10, v5
	v_add_u32_e32 v8, 0x400, v8
	s_or_b64 s[12:13], s[2:3], s[12:13]
	v_add_u32_e32 v4, 0x80, v4
	s_andn2_b64 exec, exec, s[12:13]
	s_cbranch_execz .LBB21_6
.LBB21_3:                               ; =>This Loop Header: Depth=1
                                        ;     Child Loop BB21_5 Depth 2
	s_and_saveexec_b64 s[14:15], vcc
	s_cbranch_execz .LBB21_2
; %bb.4:                                ;   in Loop: Header=BB21_3 Depth=1
	s_mov_b64 s[16:17], 0
	v_mov_b32_e32 v6, v4
	v_mov_b32_e32 v9, v8
	;; [unrolled: 1-line block ×3, first 2 shown]
.LBB21_5:                               ;   Parent Loop BB21_3 Depth=1
                                        ; =>  This Inner Loop Header: Depth=2
	v_ashrrev_i32_e32 v7, 31, v6
	v_lshl_add_u64 v[12:13], v[6:7], 3, s[20:21]
	flat_load_dwordx2 v[12:13], v[12:13]
	v_add_u32_e32 v11, 2, v11
	v_cmp_le_i32_e64 s[2:3], s11, v11
	v_add_u32_e32 v6, s19, v6
	s_or_b64 s[16:17], s[2:3], s[16:17]
	s_waitcnt vmcnt(0) lgkmcnt(0)
	ds_write_b64 v9, v[12:13]
	v_add_u32_e32 v9, s18, v9
	s_andn2_b64 exec, exec, s[16:17]
	s_cbranch_execnz .LBB21_5
	s_branch .LBB21_2
.LBB21_6:
	s_or_b64 exec, exec, s[6:7]
	s_min_i32 s27, s11, s10
	s_cmp_lt_i32 s27, 1
	s_waitcnt lgkmcnt(0)
	s_barrier
	s_cbranch_scc1 .LBB21_45
; %bb.7:
	s_load_dwordx8 s[12:19], s[0:1], 0x28
	v_mbcnt_lo_u32_b32 v1, -1, 0
	v_mbcnt_hi_u32_b32 v4, -1, v1
	v_and_b32_e32 v5, 63, v4
	v_cmp_ne_u32_e32 vcc, 63, v5
	s_waitcnt lgkmcnt(0)
	s_mul_i32 s1, s14, s5
	s_mul_hi_u32 s2, s14, s4
	s_mul_i32 s3, s15, s4
	s_add_i32 s1, s2, s1
	s_mul_i32 s0, s14, s4
	s_add_i32 s1, s1, s3
	s_lshl_b64 s[0:1], s[0:1], 2
	s_mul_i32 s5, s18, s5
	s_add_u32 s28, s12, s0
	s_mul_hi_u32 s0, s18, s4
	s_addc_u32 s29, s13, s1
	s_add_i32 s0, s0, s5
	s_mul_i32 s1, s19, s4
	v_addc_co_u32_e32 v1, vcc, 0, v4, vcc
	s_add_i32 s1, s0, s1
	s_mul_i32 s0, s18, s4
	v_cmp_gt_u32_e32 vcc, 62, v5
	s_lshl_b64 s[0:1], s[0:1], 3
	s_add_u32 s30, s16, s0
	v_cndmask_b32_e64 v6, 0, 2, vcc
	v_cmp_gt_u32_e32 vcc, 60, v5
	s_mul_i32 s0, s11, s10
	v_add_lshl_u32 v11, v6, v4, 2
	v_cndmask_b32_e64 v6, 0, 4, vcc
	v_cmp_gt_u32_e32 vcc, 56, v5
	s_addc_u32 s31, s17, s1
	s_lshl_b32 s0, s0, 3
	v_add_lshl_u32 v12, v6, v4, 2
	v_cndmask_b32_e64 v6, 0, 8, vcc
	v_cmp_gt_u32_e32 vcc, 48, v5
	s_add_i32 s33, s0, 0
	s_lshl_b32 s0, s11, 3
	v_cndmask_b32_e64 v5, 0, 16, vcc
	s_add_i32 s34, s33, s0
	v_add_lshl_u32 v14, v5, v4, 2
	v_mov_b32_e32 v5, 0x80
	v_add_lshl_u32 v13, v6, v4, 2
	v_lshl_or_b32 v15, v4, 2, v5
	v_and_b32_e32 v4, 63, v0
	s_cmp_lg_u64 s[12:13], 0
	v_cmp_eq_u32_e64 s[2:3], 0, v4
	s_cselect_b64 s[12:13], -1, 0
	s_lshl_b32 s35, s10, 3
	v_mul_lo_u32 v4, s10, v0
	s_mov_b32 s15, 0
	v_lshrrev_b32_e32 v5, 3, v0
	v_lshlrev_b32_e32 v6, 3, v0
	v_add_u32_e32 v7, s10, v4
	v_mov_b32_e32 v4, 0
	s_add_i32 s0, s35, 0
	v_lshlrev_b32_e32 v1, 2, v1
	v_cmp_eq_u32_e64 s[4:5], 0, v0
	v_add3_u32 v16, v6, 0, 8
	s_add_i32 s36, s35, 8
	v_lshl_add_u32 v17, v7, 3, 0
	s_lshl_b32 s37, s10, 11
	v_add_u32_e32 v18, s0, v6
	v_add_u32_e32 v19, s34, v5
	v_mov_b32_e32 v5, v4
	v_mov_b32_e32 v20, 1.0
	s_mov_b32 s38, 0xf800000
	v_mov_b32_e32 v21, 0x260
	s_mov_b32 s39, 0
	s_mov_b32 s40, s11
	s_mov_b32 s41, s10
	s_mov_b32 s14, s15
	s_branch .LBB21_9
.LBB21_8:                               ;   in Loop: Header=BB21_9 Depth=1
	s_or_b64 exec, exec, s[0:1]
	s_add_i32 s40, s40, -1
	s_add_i32 s14, s14, 1
	s_add_i32 s41, s41, -1
	s_add_i32 s39, s39, s36
	v_add_u32_e32 v16, s36, v16
	v_add_u32_e32 v17, s36, v17
	s_cmp_eq_u32 s14, s27
	v_add_u32_e32 v18, s36, v18
	s_waitcnt lgkmcnt(0)
	s_barrier
	s_cbranch_scc1 .LBB21_45
.LBB21_9:                               ; =>This Loop Header: Depth=1
                                        ;     Child Loop BB21_11 Depth 2
                                        ;     Child Loop BB21_30 Depth 2
	;; [unrolled: 1-line block ×3, first 2 shown]
                                        ;       Child Loop BB21_37 Depth 3
                                        ;     Child Loop BB21_41 Depth 2
                                        ;       Child Loop BB21_43 Depth 3
	s_sub_i32 s42, s10, s14
	s_add_i32 s44, s42, -1
	v_cmp_gt_i32_e64 s[6:7], s44, v0
	v_mov_b32_e32 v6, 0
	v_mov_b32_e32 v7, 0
	s_and_saveexec_b64 s[0:1], s[6:7]
	s_cbranch_execz .LBB21_13
; %bb.10:                               ;   in Loop: Header=BB21_9 Depth=1
	v_mov_b32_e32 v6, 0
	s_mov_b64 s[16:17], 0
	v_mov_b32_e32 v8, v16
	v_mov_b32_e32 v9, v0
	;; [unrolled: 1-line block ×3, first 2 shown]
.LBB21_11:                              ;   Parent Loop BB21_9 Depth=1
                                        ; =>  This Inner Loop Header: Depth=2
	ds_read_b64 v[22:23], v8
	v_add_u32_e32 v9, 0x100, v9
	v_cmp_le_i32_e32 vcc, s44, v9
	v_add_u32_e32 v8, 0x800, v8
	s_or_b64 s[16:17], vcc, s[16:17]
	s_waitcnt lgkmcnt(0)
	v_mul_f32_e32 v24, v23, v23
	v_mul_f32_e32 v25, v23, v22
	v_fmac_f32_e32 v24, v22, v22
	v_fma_f32 v22, v22, v23, -v25
	v_add_f32_e32 v7, v7, v24
	v_add_f32_e32 v6, v6, v22
	s_andn2_b64 exec, exec, s[16:17]
	s_cbranch_execnz .LBB21_11
; %bb.12:                               ;   in Loop: Header=BB21_9 Depth=1
	s_or_b64 exec, exec, s[16:17]
.LBB21_13:                              ;   in Loop: Header=BB21_9 Depth=1
	s_or_b64 exec, exec, s[0:1]
	ds_bpermute_b32 v8, v1, v7
	ds_bpermute_b32 v9, v1, v6
	s_waitcnt lgkmcnt(1)
	v_add_f32_e32 v7, v7, v8
	s_waitcnt lgkmcnt(0)
	v_add_f32_e32 v6, v6, v9
	ds_bpermute_b32 v8, v11, v7
	ds_bpermute_b32 v9, v11, v6
	s_waitcnt lgkmcnt(1)
	v_add_f32_e32 v7, v7, v8
	s_waitcnt lgkmcnt(0)
	v_add_f32_e32 v6, v6, v9
	;; [unrolled: 6-line block ×5, first 2 shown]
	ds_bpermute_b32 v6, v15, v22
	ds_bpermute_b32 v8, v15, v7
	s_waitcnt lgkmcnt(1)
	v_add_f32_e32 v6, v22, v6
	s_and_saveexec_b64 s[0:1], s[2:3]
	s_cbranch_execz .LBB21_15
; %bb.14:                               ;   in Loop: Header=BB21_9 Depth=1
	s_waitcnt lgkmcnt(0)
	v_add_f32_e32 v7, v7, v8
	ds_write2_b32 v19, v6, v7 offset0:2 offset1:3
.LBB21_15:                              ;   in Loop: Header=BB21_9 Depth=1
	s_or_b64 exec, exec, s[0:1]
	s_lshl_b32 s0, s14, 3
	s_add_i32 s43, s0, 0
	s_mul_i32 s0, s14, s10
	s_lshl_b32 s0, s0, 3
	s_add_i32 s43, s43, s0
	s_waitcnt lgkmcnt(0)
	s_barrier
	s_and_saveexec_b64 s[16:17], s[4:5]
	s_cbranch_execz .LBB21_28
; %bb.16:                               ;   in Loop: Header=BB21_9 Depth=1
	v_mov_b32_e32 v7, s34
	ds_read2_b32 v[22:23], v7 offset0:4 offset1:6
	v_mov_b32_e32 v8, s43
	ds_read_b32 v7, v7 offset:32
	ds_read_b32 v8, v8 offset:4
	s_lshl_b64 s[0:1], s[14:15], 2
	s_waitcnt lgkmcnt(2)
	v_add_f32_e32 v6, v6, v22
	v_add_f32_e32 v6, v6, v23
	s_waitcnt lgkmcnt(1)
	v_add_f32_e32 v9, v6, v7
	s_waitcnt lgkmcnt(0)
	v_mul_f32_e32 v23, v8, v8
	s_add_u32 s22, s28, s0
	v_max_f32_e32 v6, v9, v23
	s_addc_u32 s23, s29, s1
	v_cmp_nlt_f32_e32 vcc, 0, v6
	s_mov_b64 s[18:19], 0
	s_and_saveexec_b64 s[0:1], vcc
	s_xor_b64 s[0:1], exec, s[0:1]
	s_cbranch_execz .LBB21_20
; %bb.17:                               ;   in Loop: Header=BB21_9 Depth=1
	v_mov_b32_e32 v6, s34
	s_and_b64 vcc, exec, s[12:13]
	ds_write_b64 v6, v[4:5]
	s_cbranch_vccz .LBB21_19
; %bb.18:                               ;   in Loop: Header=BB21_9 Depth=1
	v_mov_b32_e32 v6, s43
	ds_read_b32 v7, v6
	s_mov_b64 s[18:19], -1
	ds_write_b32 v6, v20
	s_waitcnt lgkmcnt(1)
	global_store_dword v4, v7, s[22:23]
.LBB21_19:                              ;   in Loop: Header=BB21_9 Depth=1
	s_and_b64 s[18:19], s[18:19], exec
                                        ; implicit-def: $vgpr23
                                        ; implicit-def: $vgpr9
                                        ; implicit-def: $vgpr8
.LBB21_20:                              ;   in Loop: Header=BB21_9 Depth=1
	s_or_saveexec_b64 s[24:25], s[0:1]
	v_mov_b32_e32 v6, 1.0
	v_mov_b32_e32 v7, 0
	v_mov_b32_e32 v24, 0
	v_mov_b32_e32 v22, 1.0
	s_xor_b64 exec, exec, s[24:25]
	s_cbranch_execz .LBB21_25
; %bb.21:                               ;   in Loop: Header=BB21_9 Depth=1
	v_mov_b32_e32 v22, s43
	ds_read_b32 v24, v22
	s_waitcnt lgkmcnt(0)
	v_fma_f32 v22, v24, v24, v23
	v_add_f32_e32 v9, v9, v22
	v_mul_f32_e32 v22, 0x4f800000, v9
	v_cmp_gt_f32_e32 vcc, s38, v9
	s_nop 1
	v_cndmask_b32_e32 v9, v9, v22, vcc
	v_sqrt_f32_e32 v22, v9
	s_nop 0
	v_add_u32_e32 v25, -1, v22
	v_add_u32_e32 v26, 1, v22
	v_fma_f32 v27, -v25, v22, v9
	v_fma_f32 v28, -v26, v22, v9
	v_cmp_ge_f32_e64 s[0:1], 0, v27
	s_nop 1
	v_cndmask_b32_e64 v22, v22, v25, s[0:1]
	v_cmp_lt_f32_e64 s[0:1], 0, v28
	s_nop 1
	v_cndmask_b32_e64 v22, v22, v26, s[0:1]
	v_mul_f32_e32 v25, 0x37800000, v22
	v_cndmask_b32_e32 v22, v22, v25, vcc
	v_cmp_class_f32_e32 vcc, v9, v21
	s_nop 1
	v_cndmask_b32_e32 v9, v22, v9, vcc
	v_cmp_le_f32_e32 vcc, 0, v24
	s_nop 1
	v_cndmask_b32_e64 v9, v9, -v9, vcc
	v_sub_f32_e32 v22, v24, v9
	v_fmac_f32_e32 v23, v22, v22
	v_div_scale_f32 v25, s[0:1], v23, v23, v22
	v_rcp_f32_e32 v26, v25
	v_div_scale_f32 v27, vcc, v22, v23, v22
	v_fma_f32 v28, -v25, v26, 1.0
	v_fmac_f32_e32 v26, v28, v26
	v_mul_f32_e32 v28, v27, v26
	v_fma_f32 v29, -v25, v28, v27
	v_fmac_f32_e32 v28, v29, v26
	v_fma_f32 v25, -v25, v28, v27
	v_div_scale_f32 v27, s[0:1], v23, v23, -v8
	v_rcp_f32_e32 v29, v27
	v_div_fmas_f32 v25, v25, v26, v28
	v_div_fixup_f32 v22, v25, v23, v22
	v_fma_f32 v25, -v27, v29, 1.0
	v_fmac_f32_e32 v29, v25, v29
	v_div_scale_f32 v25, vcc, -v8, v23, -v8
	v_mul_f32_e32 v26, v25, v29
	v_fma_f32 v28, -v27, v26, v25
	v_fmac_f32_e32 v26, v28, v29
	v_fma_f32 v25, -v27, v26, v25
	v_sub_f32_e32 v27, v9, v24
	v_div_scale_f32 v28, s[0:1], v9, v9, v27
	v_rcp_f32_e32 v30, v28
	v_div_fmas_f32 v24, v25, v29, v26
	v_div_fixup_f32 v24, v24, v23, -v8
	v_fma_f32 v23, -v28, v30, 1.0
	v_fmac_f32_e32 v30, v23, v30
	v_div_scale_f32 v23, vcc, v27, v9, v27
	v_mul_f32_e32 v25, v23, v30
	v_fma_f32 v26, -v28, v25, v23
	v_fmac_f32_e32 v25, v26, v30
	v_fma_f32 v23, -v28, v25, v23
	v_div_scale_f32 v28, s[0:1], v9, v9, -v8
	v_rcp_f32_e32 v29, v28
	v_div_fmas_f32 v23, v23, v30, v25
	v_div_fixup_f32 v26, v23, v9, v27
	v_fma_f32 v23, -v28, v29, 1.0
	v_fmac_f32_e32 v29, v23, v29
	v_div_scale_f32 v23, vcc, -v8, v9, -v8
	v_mul_f32_e32 v25, v23, v29
	v_fma_f32 v27, -v28, v25, v23
	v_fmac_f32_e32 v25, v27, v29
	v_fma_f32 v23, -v28, v25, v23
	v_div_fmas_f32 v23, v23, v29, v25
	v_div_fixup_f32 v27, v23, v9, -v8
	v_mov_b32_e32 v8, s34
	s_and_b64 vcc, exec, s[12:13]
	ds_write_b64 v8, v[26:27]
	s_cbranch_vccz .LBB21_44
; %bb.22:                               ;   in Loop: Header=BB21_9 Depth=1
	v_mov_b32_e32 v8, s43
	global_store_dword v4, v9, s[22:23]
	ds_write_b32 v8, v20
	s_cbranch_execnz .LBB21_24
.LBB21_23:                              ;   in Loop: Header=BB21_9 Depth=1
	v_mov_b32_e32 v8, s43
	ds_write_b32 v8, v9
.LBB21_24:                              ;   in Loop: Header=BB21_9 Depth=1
	s_or_b64 s[18:19], s[18:19], exec
.LBB21_25:                              ;   in Loop: Header=BB21_9 Depth=1
	s_or_b64 exec, exec, s[24:25]
	v_mov_b64_e32 v[8:9], 0
	s_and_saveexec_b64 s[0:1], s[18:19]
	s_cbranch_execz .LBB21_27
; %bb.26:                               ;   in Loop: Header=BB21_9 Depth=1
	v_mov_b32_e32 v6, s43
	ds_write_b32 v6, v4 offset:4
	v_mov_b32_e32 v6, s34
	ds_read_b64 v[8:9], v6
	v_mov_b32_e32 v6, v22
	v_mov_b32_e32 v7, v24
.LBB21_27:                              ;   in Loop: Header=BB21_9 Depth=1
	s_or_b64 exec, exec, s[0:1]
	s_lshl_b64 s[0:1], s[14:15], 3
	s_add_u32 s0, s30, s0
	s_addc_u32 s1, s31, s1
	s_waitcnt lgkmcnt(0)
	global_store_dwordx2 v4, v[8:9], s[0:1]
	v_xor_b32_e32 v9, 0x80000000, v9
	v_mov_b32_e32 v22, s34
	ds_write2_b64 v22, v[8:9], v[6:7] offset1:1
.LBB21_28:                              ;   in Loop: Header=BB21_9 Depth=1
	s_or_b64 exec, exec, s[16:17]
	s_waitcnt lgkmcnt(0)
	s_barrier
	s_and_saveexec_b64 s[0:1], s[6:7]
	s_cbranch_execz .LBB21_31
; %bb.29:                               ;   in Loop: Header=BB21_9 Depth=1
	s_mov_b32 s16, 0
	s_mov_b64 s[6:7], 0
	v_mov_b32_e32 v6, v0
.LBB21_30:                              ;   Parent Loop BB21_9 Depth=1
                                        ; =>  This Inner Loop Header: Depth=2
	v_add_u32_e32 v7, s16, v16
	v_mov_b32_e32 v22, s34
	ds_read_b64 v[8:9], v7
	ds_read_b64 v[22:23], v22 offset:8
	v_add_u32_e32 v6, 0x100, v6
	s_addk_i32 s16, 0x800
	v_cmp_le_i32_e32 vcc, s44, v6
	s_or_b64 s[6:7], vcc, s[6:7]
	s_waitcnt lgkmcnt(0)
	v_pk_mul_f32 v[24:25], v[22:23], v[8:9] op_sel:[1,1] op_sel_hi:[0,1]
	v_pk_fma_f32 v[26:27], v[22:23], v[8:9], v[24:25] neg_lo:[0,0,1] neg_hi:[0,0,1]
	v_pk_fma_f32 v[8:9], v[22:23], v[8:9], v[24:25] op_sel_hi:[1,0,1]
	s_nop 0
	v_mov_b32_e32 v27, v9
	ds_write_b64 v7, v[26:27]
	s_andn2_b64 exec, exec, s[6:7]
	s_cbranch_execnz .LBB21_30
.LBB21_31:                              ;   in Loop: Header=BB21_9 Depth=1
	s_or_b64 exec, exec, s[0:1]
	s_not_b32 s0, s14
	s_add_i32 s18, s11, s0
	v_cmp_gt_i32_e32 vcc, s18, v0
	s_waitcnt lgkmcnt(0)
	s_barrier
	s_and_saveexec_b64 s[0:1], vcc
	s_cbranch_execz .LBB21_38
; %bb.32:                               ;   in Loop: Header=BB21_9 Depth=1
	s_cmp_gt_i32 s42, 0
	s_mov_b64 s[6:7], 0
	s_cselect_b64 s[16:17], -1, 0
	v_mov_b32_e32 v8, v17
	v_mov_b32_e32 v9, v0
	s_branch .LBB21_35
.LBB21_33:                              ;   in Loop: Header=BB21_35 Depth=2
	v_mov_b32_e32 v7, 0
	v_mov_b32_e32 v6, v7
.LBB21_34:                              ;   in Loop: Header=BB21_35 Depth=2
	v_mov_b32_e32 v22, s34
	ds_read_b64 v[22:23], v22
	v_lshl_add_u32 v28, v9, 3, s33
	v_add_u32_e32 v9, 0x100, v9
	v_cmp_le_i32_e32 vcc, s18, v9
	s_or_b64 s[6:7], vcc, s[6:7]
	s_waitcnt lgkmcnt(0)
	v_pk_mul_f32 v[24:25], v[6:7], v[22:23] op_sel:[1,1] op_sel_hi:[0,1]
	v_pk_fma_f32 v[26:27], v[6:7], v[22:23], v[24:25] neg_lo:[0,0,1] neg_hi:[0,0,1]
	v_pk_fma_f32 v[6:7], v[6:7], v[22:23], v[24:25] op_sel_hi:[1,0,1]
	v_add_u32_e32 v8, s37, v8
	v_mov_b32_e32 v27, v7
	ds_write_b64 v28, v[26:27]
	s_andn2_b64 exec, exec, s[6:7]
	s_cbranch_execz .LBB21_38
.LBB21_35:                              ;   Parent Loop BB21_9 Depth=1
                                        ; =>  This Loop Header: Depth=2
                                        ;       Child Loop BB21_37 Depth 3
	s_andn2_b64 vcc, exec, s[16:17]
	s_cbranch_vccnz .LBB21_33
; %bb.36:                               ;   in Loop: Header=BB21_35 Depth=2
	v_mov_b32_e32 v6, 0
	s_mov_b32 s19, s39
	s_mov_b32 s22, s41
	v_mov_b32_e32 v22, v8
	v_mov_b32_e32 v7, v6
.LBB21_37:                              ;   Parent Loop BB21_9 Depth=1
                                        ;     Parent Loop BB21_35 Depth=2
                                        ; =>    This Inner Loop Header: Depth=3
	v_mov_b32_e32 v23, s19
	ds_read_b64 v[24:25], v22
	ds_read_b64 v[26:27], v23
	s_add_i32 s22, s22, -1
	s_add_i32 s19, s19, 8
	v_add_u32_e32 v22, 8, v22
	s_waitcnt lgkmcnt(1)
	v_mov_b32_e32 v28, v25
	s_waitcnt lgkmcnt(0)
	v_pk_mul_f32 v[30:31], v[26:27], v[24:25] op_sel_hi:[1,0]
	s_cmp_eq_u32 s22, 0
	v_pk_fma_f32 v[28:29], v[26:27], v[28:29], v[30:31] op_sel:[1,0,0] op_sel_hi:[0,1,1]
	v_pk_fma_f32 v[24:25], v[26:27], v[24:25], v[30:31] op_sel:[1,1,0] op_sel_hi:[0,1,1] neg_lo:[0,0,1] neg_hi:[0,0,1]
	v_mov_b32_e32 v29, v25
	v_pk_add_f32 v[6:7], v[6:7], v[28:29]
	s_cbranch_scc0 .LBB21_37
	s_branch .LBB21_34
.LBB21_38:                              ;   in Loop: Header=BB21_9 Depth=1
	s_or_b64 exec, exec, s[0:1]
	v_cmp_gt_i32_e32 vcc, s42, v0
	s_waitcnt lgkmcnt(0)
	s_barrier
	s_and_saveexec_b64 s[0:1], vcc
	s_cbranch_execz .LBB21_8
; %bb.39:                               ;   in Loop: Header=BB21_9 Depth=1
	s_cmp_gt_i32 s18, 0
	s_mov_b64 s[6:7], 0
	s_cselect_b64 s[16:17], -1, 0
	v_mov_b32_e32 v6, v18
	v_mov_b32_e32 v7, v0
	s_branch .LBB21_41
.LBB21_40:                              ;   in Loop: Header=BB21_41 Depth=2
	v_add_u32_e32 v7, 0x100, v7
	v_cmp_le_i32_e32 vcc, s42, v7
	s_or_b64 s[6:7], vcc, s[6:7]
	v_add_u32_e32 v6, 0x800, v6
	s_andn2_b64 exec, exec, s[6:7]
	s_cbranch_execz .LBB21_8
.LBB21_41:                              ;   Parent Loop BB21_9 Depth=1
                                        ; =>  This Loop Header: Depth=2
                                        ;       Child Loop BB21_43 Depth 3
	s_andn2_b64 vcc, exec, s[16:17]
	s_cbranch_vccnz .LBB21_40
; %bb.42:                               ;   in Loop: Header=BB21_41 Depth=2
	v_lshl_add_u32 v8, v7, 3, s43
	s_mov_b32 s18, 1
	s_mov_b32 s19, s33
	v_mov_b32_e32 v9, v6
.LBB21_43:                              ;   Parent Loop BB21_9 Depth=1
                                        ;     Parent Loop BB21_41 Depth=2
                                        ; =>    This Inner Loop Header: Depth=3
	v_mov_b32_e32 v26, s19
	ds_read_b64 v[22:23], v8
	ds_read_b64 v[24:25], v9
	;; [unrolled: 1-line block ×3, first 2 shown]
	s_add_i32 s18, s18, 1
	s_add_i32 s19, s19, 8
	s_cmp_eq_u32 s40, s18
	s_waitcnt lgkmcnt(0)
	v_pk_mul_f32 v[28:29], v[26:27], v[22:23] op_sel:[1,1] op_sel_hi:[0,1]
	v_pk_fma_f32 v[30:31], v[26:27], v[22:23], v[28:29] neg_lo:[0,0,1] neg_hi:[0,0,1]
	v_pk_fma_f32 v[22:23], v[26:27], v[22:23], v[28:29] op_sel_hi:[1,0,1]
	s_nop 0
	v_mov_b32_e32 v31, v23
	v_pk_add_f32 v[22:23], v[24:25], v[30:31] neg_lo:[0,1] neg_hi:[0,1]
	ds_write_b64 v9, v[22:23]
	v_add_u32_e32 v9, s35, v9
	s_cbranch_scc0 .LBB21_43
	s_branch .LBB21_40
.LBB21_44:                              ;   in Loop: Header=BB21_9 Depth=1
	s_branch .LBB21_23
.LBB21_45:
	s_and_saveexec_b64 s[0:1], s[8:9]
	s_cbranch_execz .LBB21_51
; %bb.46:
	v_mad_u64_u32 v[0:1], s[0:1], s26, v3, v[2:3]
	v_mul_lo_u32 v1, s10, v3
	v_lshlrev_b32_e32 v1, 3, v1
	v_cmp_gt_i32_e32 vcc, s11, v3
	s_lshl_b32 s8, s26, 1
	v_add3_u32 v1, v1, v10, 0
	s_lshl_b32 s9, s10, 4
	s_mov_b64 s[2:3], 0
	s_branch .LBB21_48
.LBB21_47:                              ;   in Loop: Header=BB21_48 Depth=1
	s_or_b64 exec, exec, s[4:5]
	v_add_u32_e32 v2, 0x80, v2
	v_cmp_le_i32_e64 s[0:1], s10, v2
	v_add_u32_e32 v0, 0x80, v0
	s_or_b64 s[2:3], s[0:1], s[2:3]
	v_add_u32_e32 v1, 0x400, v1
	s_andn2_b64 exec, exec, s[2:3]
	s_cbranch_execz .LBB21_51
.LBB21_48:                              ; =>This Loop Header: Depth=1
                                        ;     Child Loop BB21_50 Depth 2
	s_and_saveexec_b64 s[4:5], vcc
	s_cbranch_execz .LBB21_47
; %bb.49:                               ;   in Loop: Header=BB21_48 Depth=1
	s_mov_b64 s[6:7], 0
	v_mov_b32_e32 v6, v1
	v_mov_b32_e32 v4, v0
	;; [unrolled: 1-line block ×3, first 2 shown]
.LBB21_50:                              ;   Parent Loop BB21_48 Depth=1
                                        ; =>  This Inner Loop Header: Depth=2
	ds_read_b64 v[8:9], v6
	v_add_u32_e32 v7, 2, v7
	v_ashrrev_i32_e32 v5, 31, v4
	v_cmp_le_i32_e64 s[0:1], s11, v7
	v_add_u32_e32 v6, s9, v6
	v_lshl_add_u64 v[10:11], v[4:5], 3, s[20:21]
	v_add_u32_e32 v4, s8, v4
	s_or_b64 s[6:7], s[0:1], s[6:7]
	s_waitcnt lgkmcnt(0)
	flat_store_dwordx2 v[10:11], v[8:9]
	s_andn2_b64 exec, exec, s[6:7]
	s_cbranch_execnz .LBB21_50
	s_branch .LBB21_47
.LBB21_51:
	s_endpgm
	.section	.rodata,"a",@progbits
	.p2align	6, 0x0
	.amdhsa_kernel _ZN9rocsolver6v33100L18geqr2_kernel_smallILi256E19rocblas_complex_numIfEifPKPS3_EEvT1_S7_T3_lS7_lPT2_lPT0_l
		.amdhsa_group_segment_fixed_size 0
		.amdhsa_private_segment_fixed_size 0
		.amdhsa_kernarg_size 72
		.amdhsa_user_sgpr_count 2
		.amdhsa_user_sgpr_dispatch_ptr 0
		.amdhsa_user_sgpr_queue_ptr 0
		.amdhsa_user_sgpr_kernarg_segment_ptr 1
		.amdhsa_user_sgpr_dispatch_id 0
		.amdhsa_user_sgpr_kernarg_preload_length 0
		.amdhsa_user_sgpr_kernarg_preload_offset 0
		.amdhsa_user_sgpr_private_segment_size 0
		.amdhsa_uses_dynamic_stack 0
		.amdhsa_enable_private_segment 0
		.amdhsa_system_sgpr_workgroup_id_x 1
		.amdhsa_system_sgpr_workgroup_id_y 0
		.amdhsa_system_sgpr_workgroup_id_z 1
		.amdhsa_system_sgpr_workgroup_info 0
		.amdhsa_system_vgpr_workitem_id 0
		.amdhsa_next_free_vgpr 32
		.amdhsa_next_free_sgpr 45
		.amdhsa_accum_offset 32
		.amdhsa_reserve_vcc 1
		.amdhsa_float_round_mode_32 0
		.amdhsa_float_round_mode_16_64 0
		.amdhsa_float_denorm_mode_32 3
		.amdhsa_float_denorm_mode_16_64 3
		.amdhsa_dx10_clamp 1
		.amdhsa_ieee_mode 1
		.amdhsa_fp16_overflow 0
		.amdhsa_tg_split 0
		.amdhsa_exception_fp_ieee_invalid_op 0
		.amdhsa_exception_fp_denorm_src 0
		.amdhsa_exception_fp_ieee_div_zero 0
		.amdhsa_exception_fp_ieee_overflow 0
		.amdhsa_exception_fp_ieee_underflow 0
		.amdhsa_exception_fp_ieee_inexact 0
		.amdhsa_exception_int_div_zero 0
	.end_amdhsa_kernel
	.section	.text._ZN9rocsolver6v33100L18geqr2_kernel_smallILi256E19rocblas_complex_numIfEifPKPS3_EEvT1_S7_T3_lS7_lPT2_lPT0_l,"axG",@progbits,_ZN9rocsolver6v33100L18geqr2_kernel_smallILi256E19rocblas_complex_numIfEifPKPS3_EEvT1_S7_T3_lS7_lPT2_lPT0_l,comdat
.Lfunc_end21:
	.size	_ZN9rocsolver6v33100L18geqr2_kernel_smallILi256E19rocblas_complex_numIfEifPKPS3_EEvT1_S7_T3_lS7_lPT2_lPT0_l, .Lfunc_end21-_ZN9rocsolver6v33100L18geqr2_kernel_smallILi256E19rocblas_complex_numIfEifPKPS3_EEvT1_S7_T3_lS7_lPT2_lPT0_l
                                        ; -- End function
	.set _ZN9rocsolver6v33100L18geqr2_kernel_smallILi256E19rocblas_complex_numIfEifPKPS3_EEvT1_S7_T3_lS7_lPT2_lPT0_l.num_vgpr, 32
	.set _ZN9rocsolver6v33100L18geqr2_kernel_smallILi256E19rocblas_complex_numIfEifPKPS3_EEvT1_S7_T3_lS7_lPT2_lPT0_l.num_agpr, 0
	.set _ZN9rocsolver6v33100L18geqr2_kernel_smallILi256E19rocblas_complex_numIfEifPKPS3_EEvT1_S7_T3_lS7_lPT2_lPT0_l.numbered_sgpr, 45
	.set _ZN9rocsolver6v33100L18geqr2_kernel_smallILi256E19rocblas_complex_numIfEifPKPS3_EEvT1_S7_T3_lS7_lPT2_lPT0_l.num_named_barrier, 0
	.set _ZN9rocsolver6v33100L18geqr2_kernel_smallILi256E19rocblas_complex_numIfEifPKPS3_EEvT1_S7_T3_lS7_lPT2_lPT0_l.private_seg_size, 0
	.set _ZN9rocsolver6v33100L18geqr2_kernel_smallILi256E19rocblas_complex_numIfEifPKPS3_EEvT1_S7_T3_lS7_lPT2_lPT0_l.uses_vcc, 1
	.set _ZN9rocsolver6v33100L18geqr2_kernel_smallILi256E19rocblas_complex_numIfEifPKPS3_EEvT1_S7_T3_lS7_lPT2_lPT0_l.uses_flat_scratch, 0
	.set _ZN9rocsolver6v33100L18geqr2_kernel_smallILi256E19rocblas_complex_numIfEifPKPS3_EEvT1_S7_T3_lS7_lPT2_lPT0_l.has_dyn_sized_stack, 0
	.set _ZN9rocsolver6v33100L18geqr2_kernel_smallILi256E19rocblas_complex_numIfEifPKPS3_EEvT1_S7_T3_lS7_lPT2_lPT0_l.has_recursion, 0
	.set _ZN9rocsolver6v33100L18geqr2_kernel_smallILi256E19rocblas_complex_numIfEifPKPS3_EEvT1_S7_T3_lS7_lPT2_lPT0_l.has_indirect_call, 0
	.section	.AMDGPU.csdata,"",@progbits
; Kernel info:
; codeLenInByte = 2740
; TotalNumSgprs: 51
; NumVgprs: 32
; NumAgprs: 0
; TotalNumVgprs: 32
; ScratchSize: 0
; MemoryBound: 0
; FloatMode: 240
; IeeeMode: 1
; LDSByteSize: 0 bytes/workgroup (compile time only)
; SGPRBlocks: 6
; VGPRBlocks: 3
; NumSGPRsForWavesPerEU: 51
; NumVGPRsForWavesPerEU: 32
; AccumOffset: 32
; Occupancy: 8
; WaveLimiterHint : 1
; COMPUTE_PGM_RSRC2:SCRATCH_EN: 0
; COMPUTE_PGM_RSRC2:USER_SGPR: 2
; COMPUTE_PGM_RSRC2:TRAP_HANDLER: 0
; COMPUTE_PGM_RSRC2:TGID_X_EN: 1
; COMPUTE_PGM_RSRC2:TGID_Y_EN: 0
; COMPUTE_PGM_RSRC2:TGID_Z_EN: 1
; COMPUTE_PGM_RSRC2:TIDIG_COMP_CNT: 0
; COMPUTE_PGM_RSRC3_GFX90A:ACCUM_OFFSET: 7
; COMPUTE_PGM_RSRC3_GFX90A:TG_SPLIT: 0
	.section	.text._ZN9rocsolver6v33100L16reset_batch_infoI19rocblas_complex_numIfEiiPS3_EEvT2_lT0_T1_,"axG",@progbits,_ZN9rocsolver6v33100L16reset_batch_infoI19rocblas_complex_numIfEiiPS3_EEvT2_lT0_T1_,comdat
	.globl	_ZN9rocsolver6v33100L16reset_batch_infoI19rocblas_complex_numIfEiiPS3_EEvT2_lT0_T1_ ; -- Begin function _ZN9rocsolver6v33100L16reset_batch_infoI19rocblas_complex_numIfEiiPS3_EEvT2_lT0_T1_
	.p2align	8
	.type	_ZN9rocsolver6v33100L16reset_batch_infoI19rocblas_complex_numIfEiiPS3_EEvT2_lT0_T1_,@function
_ZN9rocsolver6v33100L16reset_batch_infoI19rocblas_complex_numIfEiiPS3_EEvT2_lT0_T1_: ; @_ZN9rocsolver6v33100L16reset_batch_infoI19rocblas_complex_numIfEiiPS3_EEvT2_lT0_T1_
; %bb.0:
	s_load_dword s6, s[0:1], 0x24
	s_load_dwordx2 s[4:5], s[0:1], 0x10
	s_waitcnt lgkmcnt(0)
	s_and_b32 s6, s6, 0xffff
	s_mul_i32 s2, s2, s6
	v_add_u32_e32 v0, s2, v0
	v_cmp_gt_i32_e32 vcc, s4, v0
	s_and_saveexec_b64 s[6:7], vcc
	s_cbranch_execz .LBB22_2
; %bb.1:
	s_load_dwordx4 s[8:11], s[0:1], 0x0
	s_ashr_i32 s0, s3, 31
	v_cvt_f32_i32_e32 v2, s5
	v_ashrrev_i32_e32 v1, 31, v0
	v_mov_b32_e32 v3, 0
	s_waitcnt lgkmcnt(0)
	s_mul_hi_u32 s1, s10, s3
	s_mul_i32 s2, s10, s0
	s_mul_i32 s4, s11, s3
	s_add_i32 s1, s1, s2
	s_mul_i32 s0, s10, s3
	s_add_i32 s1, s1, s4
	s_lshl_b64 s[0:1], s[0:1], 3
	s_add_u32 s0, s8, s0
	s_addc_u32 s1, s9, s1
	v_lshl_add_u64 v[0:1], v[0:1], 3, s[0:1]
	global_store_dwordx2 v[0:1], v[2:3], off
.LBB22_2:
	s_endpgm
	.section	.rodata,"a",@progbits
	.p2align	6, 0x0
	.amdhsa_kernel _ZN9rocsolver6v33100L16reset_batch_infoI19rocblas_complex_numIfEiiPS3_EEvT2_lT0_T1_
		.amdhsa_group_segment_fixed_size 0
		.amdhsa_private_segment_fixed_size 0
		.amdhsa_kernarg_size 280
		.amdhsa_user_sgpr_count 2
		.amdhsa_user_sgpr_dispatch_ptr 0
		.amdhsa_user_sgpr_queue_ptr 0
		.amdhsa_user_sgpr_kernarg_segment_ptr 1
		.amdhsa_user_sgpr_dispatch_id 0
		.amdhsa_user_sgpr_kernarg_preload_length 0
		.amdhsa_user_sgpr_kernarg_preload_offset 0
		.amdhsa_user_sgpr_private_segment_size 0
		.amdhsa_uses_dynamic_stack 0
		.amdhsa_enable_private_segment 0
		.amdhsa_system_sgpr_workgroup_id_x 1
		.amdhsa_system_sgpr_workgroup_id_y 1
		.amdhsa_system_sgpr_workgroup_id_z 0
		.amdhsa_system_sgpr_workgroup_info 0
		.amdhsa_system_vgpr_workitem_id 0
		.amdhsa_next_free_vgpr 4
		.amdhsa_next_free_sgpr 12
		.amdhsa_accum_offset 4
		.amdhsa_reserve_vcc 1
		.amdhsa_float_round_mode_32 0
		.amdhsa_float_round_mode_16_64 0
		.amdhsa_float_denorm_mode_32 3
		.amdhsa_float_denorm_mode_16_64 3
		.amdhsa_dx10_clamp 1
		.amdhsa_ieee_mode 1
		.amdhsa_fp16_overflow 0
		.amdhsa_tg_split 0
		.amdhsa_exception_fp_ieee_invalid_op 0
		.amdhsa_exception_fp_denorm_src 0
		.amdhsa_exception_fp_ieee_div_zero 0
		.amdhsa_exception_fp_ieee_overflow 0
		.amdhsa_exception_fp_ieee_underflow 0
		.amdhsa_exception_fp_ieee_inexact 0
		.amdhsa_exception_int_div_zero 0
	.end_amdhsa_kernel
	.section	.text._ZN9rocsolver6v33100L16reset_batch_infoI19rocblas_complex_numIfEiiPS3_EEvT2_lT0_T1_,"axG",@progbits,_ZN9rocsolver6v33100L16reset_batch_infoI19rocblas_complex_numIfEiiPS3_EEvT2_lT0_T1_,comdat
.Lfunc_end22:
	.size	_ZN9rocsolver6v33100L16reset_batch_infoI19rocblas_complex_numIfEiiPS3_EEvT2_lT0_T1_, .Lfunc_end22-_ZN9rocsolver6v33100L16reset_batch_infoI19rocblas_complex_numIfEiiPS3_EEvT2_lT0_T1_
                                        ; -- End function
	.set _ZN9rocsolver6v33100L16reset_batch_infoI19rocblas_complex_numIfEiiPS3_EEvT2_lT0_T1_.num_vgpr, 4
	.set _ZN9rocsolver6v33100L16reset_batch_infoI19rocblas_complex_numIfEiiPS3_EEvT2_lT0_T1_.num_agpr, 0
	.set _ZN9rocsolver6v33100L16reset_batch_infoI19rocblas_complex_numIfEiiPS3_EEvT2_lT0_T1_.numbered_sgpr, 12
	.set _ZN9rocsolver6v33100L16reset_batch_infoI19rocblas_complex_numIfEiiPS3_EEvT2_lT0_T1_.num_named_barrier, 0
	.set _ZN9rocsolver6v33100L16reset_batch_infoI19rocblas_complex_numIfEiiPS3_EEvT2_lT0_T1_.private_seg_size, 0
	.set _ZN9rocsolver6v33100L16reset_batch_infoI19rocblas_complex_numIfEiiPS3_EEvT2_lT0_T1_.uses_vcc, 1
	.set _ZN9rocsolver6v33100L16reset_batch_infoI19rocblas_complex_numIfEiiPS3_EEvT2_lT0_T1_.uses_flat_scratch, 0
	.set _ZN9rocsolver6v33100L16reset_batch_infoI19rocblas_complex_numIfEiiPS3_EEvT2_lT0_T1_.has_dyn_sized_stack, 0
	.set _ZN9rocsolver6v33100L16reset_batch_infoI19rocblas_complex_numIfEiiPS3_EEvT2_lT0_T1_.has_recursion, 0
	.set _ZN9rocsolver6v33100L16reset_batch_infoI19rocblas_complex_numIfEiiPS3_EEvT2_lT0_T1_.has_indirect_call, 0
	.section	.AMDGPU.csdata,"",@progbits
; Kernel info:
; codeLenInByte = 132
; TotalNumSgprs: 18
; NumVgprs: 4
; NumAgprs: 0
; TotalNumVgprs: 4
; ScratchSize: 0
; MemoryBound: 0
; FloatMode: 240
; IeeeMode: 1
; LDSByteSize: 0 bytes/workgroup (compile time only)
; SGPRBlocks: 2
; VGPRBlocks: 0
; NumSGPRsForWavesPerEU: 18
; NumVGPRsForWavesPerEU: 4
; AccumOffset: 4
; Occupancy: 8
; WaveLimiterHint : 0
; COMPUTE_PGM_RSRC2:SCRATCH_EN: 0
; COMPUTE_PGM_RSRC2:USER_SGPR: 2
; COMPUTE_PGM_RSRC2:TRAP_HANDLER: 0
; COMPUTE_PGM_RSRC2:TGID_X_EN: 1
; COMPUTE_PGM_RSRC2:TGID_Y_EN: 1
; COMPUTE_PGM_RSRC2:TGID_Z_EN: 0
; COMPUTE_PGM_RSRC2:TIDIG_COMP_CNT: 0
; COMPUTE_PGM_RSRC3_GFX90A:ACCUM_OFFSET: 0
; COMPUTE_PGM_RSRC3_GFX90A:TG_SPLIT: 0
	.section	.text._ZN9rocsolver6v33100L8set_diagI19rocblas_complex_numIfEifPKPS3_TnNSt9enable_ifIXaa18rocblas_is_complexIT_Ent18rocblas_is_complexIT1_EEiE4typeELi0EEEvPS9_llT2_lT0_lSE_b,"axG",@progbits,_ZN9rocsolver6v33100L8set_diagI19rocblas_complex_numIfEifPKPS3_TnNSt9enable_ifIXaa18rocblas_is_complexIT_Ent18rocblas_is_complexIT1_EEiE4typeELi0EEEvPS9_llT2_lT0_lSE_b,comdat
	.globl	_ZN9rocsolver6v33100L8set_diagI19rocblas_complex_numIfEifPKPS3_TnNSt9enable_ifIXaa18rocblas_is_complexIT_Ent18rocblas_is_complexIT1_EEiE4typeELi0EEEvPS9_llT2_lT0_lSE_b ; -- Begin function _ZN9rocsolver6v33100L8set_diagI19rocblas_complex_numIfEifPKPS3_TnNSt9enable_ifIXaa18rocblas_is_complexIT_Ent18rocblas_is_complexIT1_EEiE4typeELi0EEEvPS9_llT2_lT0_lSE_b
	.p2align	8
	.type	_ZN9rocsolver6v33100L8set_diagI19rocblas_complex_numIfEifPKPS3_TnNSt9enable_ifIXaa18rocblas_is_complexIT_Ent18rocblas_is_complexIT1_EEiE4typeELi0EEEvPS9_llT2_lT0_lSE_b,@function
_ZN9rocsolver6v33100L8set_diagI19rocblas_complex_numIfEifPKPS3_TnNSt9enable_ifIXaa18rocblas_is_complexIT_Ent18rocblas_is_complexIT1_EEiE4typeELi0EEEvPS9_llT2_lT0_lSE_b: ; @_ZN9rocsolver6v33100L8set_diagI19rocblas_complex_numIfEifPKPS3_TnNSt9enable_ifIXaa18rocblas_is_complexIT_Ent18rocblas_is_complexIT1_EEiE4typeELi0EEEvPS9_llT2_lT0_lSE_b
; %bb.0:
	s_load_dword s4, s[0:1], 0x4c
	s_load_dwordx2 s[12:13], s[0:1], 0x38
	v_bfe_u32 v0, v0, 10, 10
	s_waitcnt lgkmcnt(0)
	s_lshr_b32 s4, s4, 16
	s_mul_i32 s3, s3, s4
	v_add_u32_e32 v0, s3, v0
	v_cmp_gt_i32_e32 vcc, s12, v0
	s_and_saveexec_b64 s[4:5], vcc
	s_cbranch_execz .LBB23_5
; %bb.1:
	s_load_dwordx8 s[4:11], s[0:1], 0x0
	s_load_dwordx2 s[14:15], s[0:1], 0x20
	s_bitcmp1_b32 s13, 0
	s_cselect_b64 s[12:13], -1, 0
	s_ashr_i32 s3, s2, 31
	s_lshl_b64 s[16:17], s[2:3], 3
	s_waitcnt lgkmcnt(0)
	s_add_u32 s10, s10, s16
	s_addc_u32 s11, s11, s17
	s_load_dwordx2 s[16:17], s[10:11], 0x0
	s_load_dword s18, s[0:1], 0x28
	s_lshl_b64 s[0:1], s[14:15], 3
	s_mul_i32 s3, s8, s3
	s_mul_i32 s9, s9, s2
	s_waitcnt lgkmcnt(0)
	s_add_u32 s0, s16, s0
	v_mad_u64_u32 v[2:3], s[10:11], v0, s18, v[0:1]
	s_addc_u32 s1, s17, s1
	v_ashrrev_i32_e32 v3, 31, v2
	v_lshl_add_u64 v[2:3], v[2:3], 3, s[0:1]
	flat_load_dword v4, v[2:3]
	s_mul_hi_u32 s1, s8, s2
	s_add_i32 s1, s1, s3
	s_mul_i32 s0, s8, s2
	s_add_i32 s1, s1, s9
	s_lshl_b64 s[0:1], s[0:1], 2
	s_add_u32 s2, s4, s0
	s_addc_u32 s3, s5, s1
	s_lshl_b64 s[0:1], s[6:7], 2
	s_add_u32 s0, s2, s0
	v_ashrrev_i32_e32 v1, 31, v0
	s_addc_u32 s1, s3, s1
	s_and_b64 vcc, exec, s[12:13]
	v_lshl_add_u64 v[0:1], v[0:1], 2, s[0:1]
	s_waitcnt vmcnt(0) lgkmcnt(0)
	global_store_dword v[0:1], v4, off
	s_cbranch_vccnz .LBB23_3
; %bb.2:
	flat_load_dword v5, v[2:3] offset:4
	s_branch .LBB23_4
.LBB23_3:
	v_mov_b32_e32 v5, 0
	v_mov_b32_e32 v4, 1.0
.LBB23_4:
	s_waitcnt vmcnt(0) lgkmcnt(0)
	flat_store_dwordx2 v[2:3], v[4:5]
.LBB23_5:
	s_endpgm
	.section	.rodata,"a",@progbits
	.p2align	6, 0x0
	.amdhsa_kernel _ZN9rocsolver6v33100L8set_diagI19rocblas_complex_numIfEifPKPS3_TnNSt9enable_ifIXaa18rocblas_is_complexIT_Ent18rocblas_is_complexIT1_EEiE4typeELi0EEEvPS9_llT2_lT0_lSE_b
		.amdhsa_group_segment_fixed_size 0
		.amdhsa_private_segment_fixed_size 0
		.amdhsa_kernarg_size 320
		.amdhsa_user_sgpr_count 2
		.amdhsa_user_sgpr_dispatch_ptr 0
		.amdhsa_user_sgpr_queue_ptr 0
		.amdhsa_user_sgpr_kernarg_segment_ptr 1
		.amdhsa_user_sgpr_dispatch_id 0
		.amdhsa_user_sgpr_kernarg_preload_length 0
		.amdhsa_user_sgpr_kernarg_preload_offset 0
		.amdhsa_user_sgpr_private_segment_size 0
		.amdhsa_uses_dynamic_stack 0
		.amdhsa_enable_private_segment 0
		.amdhsa_system_sgpr_workgroup_id_x 1
		.amdhsa_system_sgpr_workgroup_id_y 1
		.amdhsa_system_sgpr_workgroup_id_z 0
		.amdhsa_system_sgpr_workgroup_info 0
		.amdhsa_system_vgpr_workitem_id 1
		.amdhsa_next_free_vgpr 6
		.amdhsa_next_free_sgpr 19
		.amdhsa_accum_offset 8
		.amdhsa_reserve_vcc 1
		.amdhsa_float_round_mode_32 0
		.amdhsa_float_round_mode_16_64 0
		.amdhsa_float_denorm_mode_32 3
		.amdhsa_float_denorm_mode_16_64 3
		.amdhsa_dx10_clamp 1
		.amdhsa_ieee_mode 1
		.amdhsa_fp16_overflow 0
		.amdhsa_tg_split 0
		.amdhsa_exception_fp_ieee_invalid_op 0
		.amdhsa_exception_fp_denorm_src 0
		.amdhsa_exception_fp_ieee_div_zero 0
		.amdhsa_exception_fp_ieee_overflow 0
		.amdhsa_exception_fp_ieee_underflow 0
		.amdhsa_exception_fp_ieee_inexact 0
		.amdhsa_exception_int_div_zero 0
	.end_amdhsa_kernel
	.section	.text._ZN9rocsolver6v33100L8set_diagI19rocblas_complex_numIfEifPKPS3_TnNSt9enable_ifIXaa18rocblas_is_complexIT_Ent18rocblas_is_complexIT1_EEiE4typeELi0EEEvPS9_llT2_lT0_lSE_b,"axG",@progbits,_ZN9rocsolver6v33100L8set_diagI19rocblas_complex_numIfEifPKPS3_TnNSt9enable_ifIXaa18rocblas_is_complexIT_Ent18rocblas_is_complexIT1_EEiE4typeELi0EEEvPS9_llT2_lT0_lSE_b,comdat
.Lfunc_end23:
	.size	_ZN9rocsolver6v33100L8set_diagI19rocblas_complex_numIfEifPKPS3_TnNSt9enable_ifIXaa18rocblas_is_complexIT_Ent18rocblas_is_complexIT1_EEiE4typeELi0EEEvPS9_llT2_lT0_lSE_b, .Lfunc_end23-_ZN9rocsolver6v33100L8set_diagI19rocblas_complex_numIfEifPKPS3_TnNSt9enable_ifIXaa18rocblas_is_complexIT_Ent18rocblas_is_complexIT1_EEiE4typeELi0EEEvPS9_llT2_lT0_lSE_b
                                        ; -- End function
	.set _ZN9rocsolver6v33100L8set_diagI19rocblas_complex_numIfEifPKPS3_TnNSt9enable_ifIXaa18rocblas_is_complexIT_Ent18rocblas_is_complexIT1_EEiE4typeELi0EEEvPS9_llT2_lT0_lSE_b.num_vgpr, 6
	.set _ZN9rocsolver6v33100L8set_diagI19rocblas_complex_numIfEifPKPS3_TnNSt9enable_ifIXaa18rocblas_is_complexIT_Ent18rocblas_is_complexIT1_EEiE4typeELi0EEEvPS9_llT2_lT0_lSE_b.num_agpr, 0
	.set _ZN9rocsolver6v33100L8set_diagI19rocblas_complex_numIfEifPKPS3_TnNSt9enable_ifIXaa18rocblas_is_complexIT_Ent18rocblas_is_complexIT1_EEiE4typeELi0EEEvPS9_llT2_lT0_lSE_b.numbered_sgpr, 19
	.set _ZN9rocsolver6v33100L8set_diagI19rocblas_complex_numIfEifPKPS3_TnNSt9enable_ifIXaa18rocblas_is_complexIT_Ent18rocblas_is_complexIT1_EEiE4typeELi0EEEvPS9_llT2_lT0_lSE_b.num_named_barrier, 0
	.set _ZN9rocsolver6v33100L8set_diagI19rocblas_complex_numIfEifPKPS3_TnNSt9enable_ifIXaa18rocblas_is_complexIT_Ent18rocblas_is_complexIT1_EEiE4typeELi0EEEvPS9_llT2_lT0_lSE_b.private_seg_size, 0
	.set _ZN9rocsolver6v33100L8set_diagI19rocblas_complex_numIfEifPKPS3_TnNSt9enable_ifIXaa18rocblas_is_complexIT_Ent18rocblas_is_complexIT1_EEiE4typeELi0EEEvPS9_llT2_lT0_lSE_b.uses_vcc, 1
	.set _ZN9rocsolver6v33100L8set_diagI19rocblas_complex_numIfEifPKPS3_TnNSt9enable_ifIXaa18rocblas_is_complexIT_Ent18rocblas_is_complexIT1_EEiE4typeELi0EEEvPS9_llT2_lT0_lSE_b.uses_flat_scratch, 0
	.set _ZN9rocsolver6v33100L8set_diagI19rocblas_complex_numIfEifPKPS3_TnNSt9enable_ifIXaa18rocblas_is_complexIT_Ent18rocblas_is_complexIT1_EEiE4typeELi0EEEvPS9_llT2_lT0_lSE_b.has_dyn_sized_stack, 0
	.set _ZN9rocsolver6v33100L8set_diagI19rocblas_complex_numIfEifPKPS3_TnNSt9enable_ifIXaa18rocblas_is_complexIT_Ent18rocblas_is_complexIT1_EEiE4typeELi0EEEvPS9_llT2_lT0_lSE_b.has_recursion, 0
	.set _ZN9rocsolver6v33100L8set_diagI19rocblas_complex_numIfEifPKPS3_TnNSt9enable_ifIXaa18rocblas_is_complexIT_Ent18rocblas_is_complexIT1_EEiE4typeELi0EEEvPS9_llT2_lT0_lSE_b.has_indirect_call, 0
	.section	.AMDGPU.csdata,"",@progbits
; Kernel info:
; codeLenInByte = 272
; TotalNumSgprs: 25
; NumVgprs: 6
; NumAgprs: 0
; TotalNumVgprs: 6
; ScratchSize: 0
; MemoryBound: 0
; FloatMode: 240
; IeeeMode: 1
; LDSByteSize: 0 bytes/workgroup (compile time only)
; SGPRBlocks: 3
; VGPRBlocks: 0
; NumSGPRsForWavesPerEU: 25
; NumVGPRsForWavesPerEU: 6
; AccumOffset: 8
; Occupancy: 8
; WaveLimiterHint : 1
; COMPUTE_PGM_RSRC2:SCRATCH_EN: 0
; COMPUTE_PGM_RSRC2:USER_SGPR: 2
; COMPUTE_PGM_RSRC2:TRAP_HANDLER: 0
; COMPUTE_PGM_RSRC2:TGID_X_EN: 1
; COMPUTE_PGM_RSRC2:TGID_Y_EN: 1
; COMPUTE_PGM_RSRC2:TGID_Z_EN: 0
; COMPUTE_PGM_RSRC2:TIDIG_COMP_CNT: 1
; COMPUTE_PGM_RSRC3_GFX90A:ACCUM_OFFSET: 1
; COMPUTE_PGM_RSRC3_GFX90A:TG_SPLIT: 0
	.section	.text._ZN9rocsolver6v33100L11set_taubetaI19rocblas_complex_numIfEifPKPS3_EEvPT_lS8_T2_llPT1_ll,"axG",@progbits,_ZN9rocsolver6v33100L11set_taubetaI19rocblas_complex_numIfEifPKPS3_EEvPT_lS8_T2_llPT1_ll,comdat
	.globl	_ZN9rocsolver6v33100L11set_taubetaI19rocblas_complex_numIfEifPKPS3_EEvPT_lS8_T2_llPT1_ll ; -- Begin function _ZN9rocsolver6v33100L11set_taubetaI19rocblas_complex_numIfEifPKPS3_EEvPT_lS8_T2_llPT1_ll
	.p2align	8
	.type	_ZN9rocsolver6v33100L11set_taubetaI19rocblas_complex_numIfEifPKPS3_EEvPT_lS8_T2_llPT1_ll,@function
_ZN9rocsolver6v33100L11set_taubetaI19rocblas_complex_numIfEifPKPS3_EEvPT_lS8_T2_llPT1_ll: ; @_ZN9rocsolver6v33100L11set_taubetaI19rocblas_complex_numIfEifPKPS3_EEvPT_lS8_T2_llPT1_ll
; %bb.0:
	s_load_dwordx8 s[4:11], s[0:1], 0x0
	s_load_dwordx2 s[22:23], s[0:1], 0x20
	s_load_dwordx4 s[12:15], s[0:1], 0x30
	s_ashr_i32 s3, s2, 31
	s_lshl_b64 s[20:21], s[2:3], 3
	s_waitcnt lgkmcnt(0)
	s_add_u32 s10, s10, s20
	s_addc_u32 s11, s11, s21
	s_load_dwordx2 s[10:11], s[10:11], 0x0
	s_mov_b64 s[16:17], 0
	s_cmp_eq_u64 s[12:13], 0
	s_mov_b64 s[18:19], 0
	s_cbranch_scc1 .LBB24_2
; %bb.1:
	s_load_dwordx2 s[0:1], s[0:1], 0x40
	s_waitcnt lgkmcnt(0)
	s_mul_i32 s18, s0, s3
	s_mul_hi_u32 s19, s0, s2
	s_mul_i32 s1, s1, s2
	s_add_i32 s18, s19, s18
	s_mul_i32 s0, s0, s2
	s_add_i32 s1, s18, s1
	s_lshl_b64 s[0:1], s[0:1], 2
	s_add_u32 s12, s12, s0
	s_addc_u32 s13, s13, s1
	s_lshl_b64 s[0:1], s[14:15], 2
	s_add_u32 s18, s12, s0
	s_addc_u32 s19, s13, s1
.LBB24_2:
	s_lshl_b64 s[0:1], s[22:23], 3
	s_waitcnt lgkmcnt(0)
	s_add_u32 s10, s10, s0
	s_addc_u32 s11, s11, s1
	v_mov_b64_e32 v[0:1], s[10:11]
	flat_load_dword v0, v[0:1] offset:4
	s_mul_i32 s1, s6, s3
	s_mul_hi_u32 s3, s6, s2
	s_mul_i32 s7, s7, s2
	s_add_i32 s1, s3, s1
	s_mul_i32 s0, s6, s2
	s_add_i32 s1, s1, s7
	s_lshl_b64 s[0:1], s[0:1], 3
	s_add_u32 s12, s4, s0
	s_addc_u32 s13, s5, s1
	s_add_u32 s8, s8, s20
	s_addc_u32 s9, s9, s21
	s_load_dword s6, s[8:9], 0x0
	s_cmp_lg_u64 s[18:19], 0
	s_cselect_b64 s[0:1], -1, 0
	s_waitcnt lgkmcnt(0)
	v_max_f32_e64 v2, s6, s6
	s_waitcnt vmcnt(0)
	v_mul_f32_e32 v1, v0, v0
	v_max_f32_e32 v2, v2, v1
	v_cmp_nlt_f32_e32 vcc, 0, v2
	s_and_saveexec_b64 s[2:3], vcc
	s_xor_b64 s[2:3], exec, s[2:3]
	s_cbranch_execz .LBB24_7
; %bb.3:
	v_mov_b32_e32 v1, 0
	v_mov_b32_e32 v0, 1.0
	v_mov_b32_e32 v2, v1
	v_mov_b32_e32 v3, v1
	s_and_b64 vcc, exec, s[0:1]
	global_store_dwordx2 v1, v[0:1], s[8:9]
	global_store_dwordx2 v1, v[2:3], s[12:13]
	s_cbranch_vccz .LBB24_13
; %bb.4:
	v_mov_b64_e32 v[2:3], s[10:11]
	flat_load_dword v4, v[2:3]
	s_mov_b64 s[4:5], -1
	s_waitcnt vmcnt(0) lgkmcnt(0)
	global_store_dword v1, v4, s[18:19]
	flat_store_dword v[2:3], v0
	s_and_b64 s[16:17], s[4:5], exec
                                        ; implicit-def: $vgpr1
                                        ; implicit-def: $vgpr0
	s_andn2_saveexec_b64 s[14:15], s[2:3]
	s_cbranch_execnz .LBB24_8
.LBB24_5:
	s_or_b64 exec, exec, s[14:15]
	s_and_saveexec_b64 s[0:1], s[16:17]
	s_cbranch_execz .LBB24_12
.LBB24_6:
	v_mov_b32_e32 v2, 0
	v_mov_b64_e32 v[0:1], s[10:11]
	flat_store_dword v[0:1], v2 offset:4
	s_endpgm
.LBB24_7:
	s_andn2_saveexec_b64 s[14:15], s[2:3]
	s_cbranch_execz .LBB24_5
.LBB24_8:
	v_mov_b64_e32 v[2:3], s[10:11]
	flat_load_dword v4, v[2:3]
	s_mov_b32 s2, 0xf800000
	v_mov_b32_e32 v6, 0x260
	s_and_b64 s[0:1], exec, s[0:1]
	s_waitcnt vmcnt(0) lgkmcnt(0)
	v_fma_f32 v2, v4, v4, v1
	v_add_f32_e32 v2, s6, v2
	v_mul_f32_e32 v3, 0x4f800000, v2
	v_cmp_gt_f32_e32 vcc, s2, v2
	s_nop 1
	v_cndmask_b32_e32 v3, v2, v3, vcc
	v_sqrt_f32_e32 v5, v3
	v_mov_b32_e32 v2, 0
	v_add_u32_e32 v7, -1, v5
	v_add_u32_e32 v8, 1, v5
	v_fma_f32 v9, -v7, v5, v3
	v_fma_f32 v10, -v8, v5, v3
	v_cmp_ge_f32_e64 s[2:3], 0, v9
	s_nop 1
	v_cndmask_b32_e64 v5, v5, v7, s[2:3]
	v_cmp_lt_f32_e64 s[2:3], 0, v10
	s_nop 1
	v_cndmask_b32_e64 v5, v5, v8, s[2:3]
	v_mul_f32_e32 v7, 0x37800000, v5
	v_cndmask_b32_e32 v5, v5, v7, vcc
	v_cmp_class_f32_e32 vcc, v3, v6
	s_nop 1
	v_cndmask_b32_e32 v3, v5, v3, vcc
	v_cmp_le_f32_e32 vcc, 0, v4
	s_nop 1
	v_cndmask_b32_e64 v3, v3, -v3, vcc
	v_sub_f32_e32 v5, v4, v3
	v_sub_f32_e32 v6, v3, v4
	v_div_scale_f32 v4, s[2:3], v3, v3, -v0
	v_fmac_f32_e32 v1, v5, v5
	v_div_scale_f32 v8, s[4:5], v3, v3, v6
	v_rcp_f32_e32 v10, v4
	v_div_scale_f32 v11, s[6:7], v1, v1, v5
	v_div_scale_f32 v13, s[6:7], v1, v1, -v0
	v_rcp_f32_e32 v15, v8
	v_rcp_f32_e32 v16, v11
	;; [unrolled: 1-line block ×3, first 2 shown]
	v_fma_f32 v18, -v4, v10, 1.0
	v_div_scale_f32 v7, s[2:3], -v0, v3, -v0
	v_fma_f32 v19, -v8, v15, 1.0
	v_fmac_f32_e32 v10, v18, v10
	v_fma_f32 v18, -v11, v16, 1.0
	v_div_scale_f32 v12, vcc, v5, v1, v5
	v_fma_f32 v20, -v13, v17, 1.0
	v_fmac_f32_e32 v15, v19, v15
	v_mul_f32_e32 v19, v7, v10
	v_fmac_f32_e32 v16, v18, v16
	v_div_scale_f32 v9, s[4:5], v6, v3, v6
	v_div_scale_f32 v14, s[6:7], -v0, v1, -v0
	v_fmac_f32_e32 v17, v20, v17
	v_fma_f32 v20, -v4, v19, v7
	v_mul_f32_e32 v21, v12, v16
	v_mul_f32_e32 v18, v9, v15
	;; [unrolled: 1-line block ×3, first 2 shown]
	v_fmac_f32_e32 v19, v20, v10
	v_fma_f32 v20, -v11, v21, v12
	v_fma_f32 v23, -v8, v18, v9
	;; [unrolled: 1-line block ×3, first 2 shown]
	v_fmac_f32_e32 v21, v20, v16
	v_fmac_f32_e32 v18, v23, v15
	v_fma_f32 v7, -v4, v19, v7
	v_fmac_f32_e32 v22, v24, v17
	v_fma_f32 v4, -v11, v21, v12
	v_fma_f32 v8, -v8, v18, v9
	;; [unrolled: 1-line block ×3, first 2 shown]
	v_div_fmas_f32 v4, v4, v16, v21
	s_mov_b64 vcc, s[6:7]
	v_div_fixup_f32 v4, v4, v1, v5
	v_div_fmas_f32 v5, v9, v17, v22
	s_mov_b64 vcc, s[4:5]
	v_div_fixup_f32 v5, v5, v1, -v0
	v_div_fmas_f32 v1, v8, v15, v18
	s_mov_b64 vcc, s[2:3]
	global_store_dwordx2 v2, v[4:5], s[8:9]
	v_div_fixup_f32 v4, v1, v3, v6
	v_div_fmas_f32 v1, v7, v10, v19
	v_div_fixup_f32 v5, v1, v3, -v0
	s_mov_b64 vcc, s[0:1]
	global_store_dwordx2 v2, v[4:5], s[12:13]
	s_cbranch_vccz .LBB24_14
; %bb.9:
	global_store_dword v2, v3, s[18:19]
	v_mov_b32_e32 v2, 1.0
	v_mov_b64_e32 v[0:1], s[10:11]
	flat_store_dword v[0:1], v2
	s_cbranch_execnz .LBB24_11
.LBB24_10:
	v_mov_b64_e32 v[0:1], s[10:11]
	flat_store_dword v[0:1], v3
.LBB24_11:
	s_or_b64 s[16:17], s[16:17], exec
	s_or_b64 exec, exec, s[14:15]
	s_and_saveexec_b64 s[0:1], s[16:17]
	s_cbranch_execnz .LBB24_6
.LBB24_12:
	s_endpgm
.LBB24_13:
	s_mov_b64 s[4:5], 0
	s_and_b64 s[16:17], s[4:5], exec
                                        ; implicit-def: $vgpr1
                                        ; implicit-def: $vgpr0
	s_andn2_saveexec_b64 s[14:15], s[2:3]
	s_cbranch_execz .LBB24_5
	s_branch .LBB24_8
.LBB24_14:
	s_branch .LBB24_10
	.section	.rodata,"a",@progbits
	.p2align	6, 0x0
	.amdhsa_kernel _ZN9rocsolver6v33100L11set_taubetaI19rocblas_complex_numIfEifPKPS3_EEvPT_lS8_T2_llPT1_ll
		.amdhsa_group_segment_fixed_size 0
		.amdhsa_private_segment_fixed_size 0
		.amdhsa_kernarg_size 72
		.amdhsa_user_sgpr_count 2
		.amdhsa_user_sgpr_dispatch_ptr 0
		.amdhsa_user_sgpr_queue_ptr 0
		.amdhsa_user_sgpr_kernarg_segment_ptr 1
		.amdhsa_user_sgpr_dispatch_id 0
		.amdhsa_user_sgpr_kernarg_preload_length 0
		.amdhsa_user_sgpr_kernarg_preload_offset 0
		.amdhsa_user_sgpr_private_segment_size 0
		.amdhsa_uses_dynamic_stack 0
		.amdhsa_enable_private_segment 0
		.amdhsa_system_sgpr_workgroup_id_x 1
		.amdhsa_system_sgpr_workgroup_id_y 0
		.amdhsa_system_sgpr_workgroup_id_z 0
		.amdhsa_system_sgpr_workgroup_info 0
		.amdhsa_system_vgpr_workitem_id 0
		.amdhsa_next_free_vgpr 25
		.amdhsa_next_free_sgpr 24
		.amdhsa_accum_offset 28
		.amdhsa_reserve_vcc 1
		.amdhsa_float_round_mode_32 0
		.amdhsa_float_round_mode_16_64 0
		.amdhsa_float_denorm_mode_32 3
		.amdhsa_float_denorm_mode_16_64 3
		.amdhsa_dx10_clamp 1
		.amdhsa_ieee_mode 1
		.amdhsa_fp16_overflow 0
		.amdhsa_tg_split 0
		.amdhsa_exception_fp_ieee_invalid_op 0
		.amdhsa_exception_fp_denorm_src 0
		.amdhsa_exception_fp_ieee_div_zero 0
		.amdhsa_exception_fp_ieee_overflow 0
		.amdhsa_exception_fp_ieee_underflow 0
		.amdhsa_exception_fp_ieee_inexact 0
		.amdhsa_exception_int_div_zero 0
	.end_amdhsa_kernel
	.section	.text._ZN9rocsolver6v33100L11set_taubetaI19rocblas_complex_numIfEifPKPS3_EEvPT_lS8_T2_llPT1_ll,"axG",@progbits,_ZN9rocsolver6v33100L11set_taubetaI19rocblas_complex_numIfEifPKPS3_EEvPT_lS8_T2_llPT1_ll,comdat
.Lfunc_end24:
	.size	_ZN9rocsolver6v33100L11set_taubetaI19rocblas_complex_numIfEifPKPS3_EEvPT_lS8_T2_llPT1_ll, .Lfunc_end24-_ZN9rocsolver6v33100L11set_taubetaI19rocblas_complex_numIfEifPKPS3_EEvPT_lS8_T2_llPT1_ll
                                        ; -- End function
	.set _ZN9rocsolver6v33100L11set_taubetaI19rocblas_complex_numIfEifPKPS3_EEvPT_lS8_T2_llPT1_ll.num_vgpr, 25
	.set _ZN9rocsolver6v33100L11set_taubetaI19rocblas_complex_numIfEifPKPS3_EEvPT_lS8_T2_llPT1_ll.num_agpr, 0
	.set _ZN9rocsolver6v33100L11set_taubetaI19rocblas_complex_numIfEifPKPS3_EEvPT_lS8_T2_llPT1_ll.numbered_sgpr, 24
	.set _ZN9rocsolver6v33100L11set_taubetaI19rocblas_complex_numIfEifPKPS3_EEvPT_lS8_T2_llPT1_ll.num_named_barrier, 0
	.set _ZN9rocsolver6v33100L11set_taubetaI19rocblas_complex_numIfEifPKPS3_EEvPT_lS8_T2_llPT1_ll.private_seg_size, 0
	.set _ZN9rocsolver6v33100L11set_taubetaI19rocblas_complex_numIfEifPKPS3_EEvPT_lS8_T2_llPT1_ll.uses_vcc, 1
	.set _ZN9rocsolver6v33100L11set_taubetaI19rocblas_complex_numIfEifPKPS3_EEvPT_lS8_T2_llPT1_ll.uses_flat_scratch, 0
	.set _ZN9rocsolver6v33100L11set_taubetaI19rocblas_complex_numIfEifPKPS3_EEvPT_lS8_T2_llPT1_ll.has_dyn_sized_stack, 0
	.set _ZN9rocsolver6v33100L11set_taubetaI19rocblas_complex_numIfEifPKPS3_EEvPT_lS8_T2_llPT1_ll.has_recursion, 0
	.set _ZN9rocsolver6v33100L11set_taubetaI19rocblas_complex_numIfEifPKPS3_EEvPT_lS8_T2_llPT1_ll.has_indirect_call, 0
	.section	.AMDGPU.csdata,"",@progbits
; Kernel info:
; codeLenInByte = 984
; TotalNumSgprs: 30
; NumVgprs: 25
; NumAgprs: 0
; TotalNumVgprs: 25
; ScratchSize: 0
; MemoryBound: 0
; FloatMode: 240
; IeeeMode: 1
; LDSByteSize: 0 bytes/workgroup (compile time only)
; SGPRBlocks: 3
; VGPRBlocks: 3
; NumSGPRsForWavesPerEU: 30
; NumVGPRsForWavesPerEU: 25
; AccumOffset: 28
; Occupancy: 8
; WaveLimiterHint : 1
; COMPUTE_PGM_RSRC2:SCRATCH_EN: 0
; COMPUTE_PGM_RSRC2:USER_SGPR: 2
; COMPUTE_PGM_RSRC2:TRAP_HANDLER: 0
; COMPUTE_PGM_RSRC2:TGID_X_EN: 1
; COMPUTE_PGM_RSRC2:TGID_Y_EN: 0
; COMPUTE_PGM_RSRC2:TGID_Z_EN: 0
; COMPUTE_PGM_RSRC2:TIDIG_COMP_CNT: 0
; COMPUTE_PGM_RSRC3_GFX90A:ACCUM_OFFSET: 6
; COMPUTE_PGM_RSRC3_GFX90A:TG_SPLIT: 0
	.section	.text._ZN9rocsolver6v33100L13conj_in_placeI19rocblas_complex_numIfEiPS3_TnNSt9enable_ifIX18rocblas_is_complexIT_EEiE4typeELi0EEEvT0_S9_T1_lS9_l,"axG",@progbits,_ZN9rocsolver6v33100L13conj_in_placeI19rocblas_complex_numIfEiPS3_TnNSt9enable_ifIX18rocblas_is_complexIT_EEiE4typeELi0EEEvT0_S9_T1_lS9_l,comdat
	.globl	_ZN9rocsolver6v33100L13conj_in_placeI19rocblas_complex_numIfEiPS3_TnNSt9enable_ifIX18rocblas_is_complexIT_EEiE4typeELi0EEEvT0_S9_T1_lS9_l ; -- Begin function _ZN9rocsolver6v33100L13conj_in_placeI19rocblas_complex_numIfEiPS3_TnNSt9enable_ifIX18rocblas_is_complexIT_EEiE4typeELi0EEEvT0_S9_T1_lS9_l
	.p2align	8
	.type	_ZN9rocsolver6v33100L13conj_in_placeI19rocblas_complex_numIfEiPS3_TnNSt9enable_ifIX18rocblas_is_complexIT_EEiE4typeELi0EEEvT0_S9_T1_lS9_l,@function
_ZN9rocsolver6v33100L13conj_in_placeI19rocblas_complex_numIfEiPS3_TnNSt9enable_ifIX18rocblas_is_complexIT_EEiE4typeELi0EEEvT0_S9_T1_lS9_l: ; @_ZN9rocsolver6v33100L13conj_in_placeI19rocblas_complex_numIfEiPS3_TnNSt9enable_ifIX18rocblas_is_complexIT_EEiE4typeELi0EEEvT0_S9_T1_lS9_l
; %bb.0:
	s_load_dword s5, s[0:1], 0x34
	s_load_dwordx2 s[6:7], s[0:1], 0x0
	v_and_b32_e32 v1, 0x3ff, v0
	v_bfe_u32 v0, v0, 10, 10
	s_waitcnt lgkmcnt(0)
	s_lshr_b32 s8, s5, 16
	s_and_b32 s5, s5, 0xffff
	s_mul_i32 s2, s2, s5
	s_mul_i32 s3, s3, s8
	v_add_u32_e32 v2, s2, v1
	v_add_u32_e32 v0, s3, v0
	v_cmp_gt_i32_e32 vcc, s6, v2
	v_cmp_gt_i32_e64 s[2:3], s7, v0
	s_and_b64 s[2:3], vcc, s[2:3]
	s_and_saveexec_b64 s[6:7], s[2:3]
	s_cbranch_execz .LBB25_2
; %bb.1:
	s_load_dwordx2 s[2:3], s[0:1], 0x20
	s_load_dwordx4 s[8:11], s[0:1], 0x8
	s_load_dword s5, s[0:1], 0x18
	s_ashr_i32 s0, s4, 31
	v_ashrrev_i32_e32 v3, 31, v2
	s_waitcnt lgkmcnt(0)
	s_mul_hi_u32 s1, s2, s4
	s_mul_i32 s0, s2, s0
	s_add_i32 s0, s1, s0
	s_mul_i32 s1, s3, s4
	s_add_i32 s1, s0, s1
	s_mul_i32 s0, s2, s4
	s_lshl_b64 s[0:1], s[0:1], 3
	s_add_u32 s2, s8, s0
	s_addc_u32 s3, s9, s1
	s_lshl_b64 s[0:1], s[10:11], 3
	s_add_u32 s0, s2, s0
	s_addc_u32 s1, s3, s1
	v_mad_i64_i32 v[0:1], s[2:3], v0, s5, 0
	v_lshl_add_u64 v[4:5], v[0:1], 3, s[0:1]
	v_lshl_add_u64 v[4:5], v[2:3], 3, v[4:5]
	global_load_dwordx2 v[4:5], v[4:5], off
	v_add_u32_e32 v0, v0, v2
	v_ashrrev_i32_e32 v1, 31, v0
	v_lshl_add_u64 v[0:1], v[0:1], 3, s[0:1]
	s_waitcnt vmcnt(0)
	v_xor_b32_e32 v5, 0x80000000, v5
	global_store_dwordx2 v[0:1], v[4:5], off
.LBB25_2:
	s_endpgm
	.section	.rodata,"a",@progbits
	.p2align	6, 0x0
	.amdhsa_kernel _ZN9rocsolver6v33100L13conj_in_placeI19rocblas_complex_numIfEiPS3_TnNSt9enable_ifIX18rocblas_is_complexIT_EEiE4typeELi0EEEvT0_S9_T1_lS9_l
		.amdhsa_group_segment_fixed_size 0
		.amdhsa_private_segment_fixed_size 0
		.amdhsa_kernarg_size 296
		.amdhsa_user_sgpr_count 2
		.amdhsa_user_sgpr_dispatch_ptr 0
		.amdhsa_user_sgpr_queue_ptr 0
		.amdhsa_user_sgpr_kernarg_segment_ptr 1
		.amdhsa_user_sgpr_dispatch_id 0
		.amdhsa_user_sgpr_kernarg_preload_length 0
		.amdhsa_user_sgpr_kernarg_preload_offset 0
		.amdhsa_user_sgpr_private_segment_size 0
		.amdhsa_uses_dynamic_stack 0
		.amdhsa_enable_private_segment 0
		.amdhsa_system_sgpr_workgroup_id_x 1
		.amdhsa_system_sgpr_workgroup_id_y 1
		.amdhsa_system_sgpr_workgroup_id_z 1
		.amdhsa_system_sgpr_workgroup_info 0
		.amdhsa_system_vgpr_workitem_id 1
		.amdhsa_next_free_vgpr 6
		.amdhsa_next_free_sgpr 12
		.amdhsa_accum_offset 8
		.amdhsa_reserve_vcc 1
		.amdhsa_float_round_mode_32 0
		.amdhsa_float_round_mode_16_64 0
		.amdhsa_float_denorm_mode_32 3
		.amdhsa_float_denorm_mode_16_64 3
		.amdhsa_dx10_clamp 1
		.amdhsa_ieee_mode 1
		.amdhsa_fp16_overflow 0
		.amdhsa_tg_split 0
		.amdhsa_exception_fp_ieee_invalid_op 0
		.amdhsa_exception_fp_denorm_src 0
		.amdhsa_exception_fp_ieee_div_zero 0
		.amdhsa_exception_fp_ieee_overflow 0
		.amdhsa_exception_fp_ieee_underflow 0
		.amdhsa_exception_fp_ieee_inexact 0
		.amdhsa_exception_int_div_zero 0
	.end_amdhsa_kernel
	.section	.text._ZN9rocsolver6v33100L13conj_in_placeI19rocblas_complex_numIfEiPS3_TnNSt9enable_ifIX18rocblas_is_complexIT_EEiE4typeELi0EEEvT0_S9_T1_lS9_l,"axG",@progbits,_ZN9rocsolver6v33100L13conj_in_placeI19rocblas_complex_numIfEiPS3_TnNSt9enable_ifIX18rocblas_is_complexIT_EEiE4typeELi0EEEvT0_S9_T1_lS9_l,comdat
.Lfunc_end25:
	.size	_ZN9rocsolver6v33100L13conj_in_placeI19rocblas_complex_numIfEiPS3_TnNSt9enable_ifIX18rocblas_is_complexIT_EEiE4typeELi0EEEvT0_S9_T1_lS9_l, .Lfunc_end25-_ZN9rocsolver6v33100L13conj_in_placeI19rocblas_complex_numIfEiPS3_TnNSt9enable_ifIX18rocblas_is_complexIT_EEiE4typeELi0EEEvT0_S9_T1_lS9_l
                                        ; -- End function
	.set _ZN9rocsolver6v33100L13conj_in_placeI19rocblas_complex_numIfEiPS3_TnNSt9enable_ifIX18rocblas_is_complexIT_EEiE4typeELi0EEEvT0_S9_T1_lS9_l.num_vgpr, 6
	.set _ZN9rocsolver6v33100L13conj_in_placeI19rocblas_complex_numIfEiPS3_TnNSt9enable_ifIX18rocblas_is_complexIT_EEiE4typeELi0EEEvT0_S9_T1_lS9_l.num_agpr, 0
	.set _ZN9rocsolver6v33100L13conj_in_placeI19rocblas_complex_numIfEiPS3_TnNSt9enable_ifIX18rocblas_is_complexIT_EEiE4typeELi0EEEvT0_S9_T1_lS9_l.numbered_sgpr, 12
	.set _ZN9rocsolver6v33100L13conj_in_placeI19rocblas_complex_numIfEiPS3_TnNSt9enable_ifIX18rocblas_is_complexIT_EEiE4typeELi0EEEvT0_S9_T1_lS9_l.num_named_barrier, 0
	.set _ZN9rocsolver6v33100L13conj_in_placeI19rocblas_complex_numIfEiPS3_TnNSt9enable_ifIX18rocblas_is_complexIT_EEiE4typeELi0EEEvT0_S9_T1_lS9_l.private_seg_size, 0
	.set _ZN9rocsolver6v33100L13conj_in_placeI19rocblas_complex_numIfEiPS3_TnNSt9enable_ifIX18rocblas_is_complexIT_EEiE4typeELi0EEEvT0_S9_T1_lS9_l.uses_vcc, 1
	.set _ZN9rocsolver6v33100L13conj_in_placeI19rocblas_complex_numIfEiPS3_TnNSt9enable_ifIX18rocblas_is_complexIT_EEiE4typeELi0EEEvT0_S9_T1_lS9_l.uses_flat_scratch, 0
	.set _ZN9rocsolver6v33100L13conj_in_placeI19rocblas_complex_numIfEiPS3_TnNSt9enable_ifIX18rocblas_is_complexIT_EEiE4typeELi0EEEvT0_S9_T1_lS9_l.has_dyn_sized_stack, 0
	.set _ZN9rocsolver6v33100L13conj_in_placeI19rocblas_complex_numIfEiPS3_TnNSt9enable_ifIX18rocblas_is_complexIT_EEiE4typeELi0EEEvT0_S9_T1_lS9_l.has_recursion, 0
	.set _ZN9rocsolver6v33100L13conj_in_placeI19rocblas_complex_numIfEiPS3_TnNSt9enable_ifIX18rocblas_is_complexIT_EEiE4typeELi0EEEvT0_S9_T1_lS9_l.has_indirect_call, 0
	.section	.AMDGPU.csdata,"",@progbits
; Kernel info:
; codeLenInByte = 244
; TotalNumSgprs: 18
; NumVgprs: 6
; NumAgprs: 0
; TotalNumVgprs: 6
; ScratchSize: 0
; MemoryBound: 0
; FloatMode: 240
; IeeeMode: 1
; LDSByteSize: 0 bytes/workgroup (compile time only)
; SGPRBlocks: 2
; VGPRBlocks: 0
; NumSGPRsForWavesPerEU: 18
; NumVGPRsForWavesPerEU: 6
; AccumOffset: 8
; Occupancy: 8
; WaveLimiterHint : 0
; COMPUTE_PGM_RSRC2:SCRATCH_EN: 0
; COMPUTE_PGM_RSRC2:USER_SGPR: 2
; COMPUTE_PGM_RSRC2:TRAP_HANDLER: 0
; COMPUTE_PGM_RSRC2:TGID_X_EN: 1
; COMPUTE_PGM_RSRC2:TGID_Y_EN: 1
; COMPUTE_PGM_RSRC2:TGID_Z_EN: 1
; COMPUTE_PGM_RSRC2:TIDIG_COMP_CNT: 1
; COMPUTE_PGM_RSRC3_GFX90A:ACCUM_OFFSET: 1
; COMPUTE_PGM_RSRC3_GFX90A:TG_SPLIT: 0
	.section	.text._ZN9rocsolver6v33100L16larf_left_kernelILi1024E19rocblas_complex_numIfEiPKPS3_EEvT1_S7_T2_lS7_lPKT0_lS8_lS7_l,"axG",@progbits,_ZN9rocsolver6v33100L16larf_left_kernelILi1024E19rocblas_complex_numIfEiPKPS3_EEvT1_S7_T2_lS7_lPKT0_lS8_lS7_l,comdat
	.globl	_ZN9rocsolver6v33100L16larf_left_kernelILi1024E19rocblas_complex_numIfEiPKPS3_EEvT1_S7_T2_lS7_lPKT0_lS8_lS7_l ; -- Begin function _ZN9rocsolver6v33100L16larf_left_kernelILi1024E19rocblas_complex_numIfEiPKPS3_EEvT1_S7_T2_lS7_lPKT0_lS8_lS7_l
	.p2align	8
	.type	_ZN9rocsolver6v33100L16larf_left_kernelILi1024E19rocblas_complex_numIfEiPKPS3_EEvT1_S7_T2_lS7_lPKT0_lS8_lS7_l,@function
_ZN9rocsolver6v33100L16larf_left_kernelILi1024E19rocblas_complex_numIfEiPKPS3_EEvT1_S7_T2_lS7_lPKT0_lS8_lS7_l: ; @_ZN9rocsolver6v33100L16larf_left_kernelILi1024E19rocblas_complex_numIfEiPKPS3_EEvT1_S7_T2_lS7_lPKT0_lS8_lS7_l
; %bb.0:
	s_load_dwordx8 s[8:15], s[0:1], 0x28
	s_load_dword s20, s[0:1], 0x0
	s_load_dword s2, s[0:1], 0x48
	s_ashr_i32 s5, s4, 31
	s_lshl_b64 s[16:17], s[4:5], 3
	s_waitcnt lgkmcnt(0)
	s_add_u32 s6, s12, s16
	s_addc_u32 s7, s13, s17
	s_load_dwordx2 s[6:7], s[6:7], 0x0
	v_mov_b32_e32 v5, 0
	v_cmp_gt_i32_e32 vcc, s20, v0
	s_mul_hi_i32 s13, s3, s2
	s_mul_i32 s12, s3, s2
	v_mov_b32_e32 v4, v5
	s_and_saveexec_b64 s[2:3], vcc
	s_cbranch_execz .LBB26_6
; %bb.1:
	s_load_dword s18, s[0:1], 0x18
	s_load_dwordx4 s[24:27], s[0:1], 0x8
	s_sub_i32 s0, 1, s20
	v_lshl_add_u32 v1, v0, 3, 0
	v_add_u32_e32 v1, 0x80, v1
	s_waitcnt lgkmcnt(0)
	s_ashr_i32 s19, s18, 31
	s_mul_i32 s21, s18, s0
	v_cmp_lt_i64_e64 s[0:1], s[18:19], 1
	s_and_b64 s[0:1], s[0:1], exec
	s_cselect_b32 s0, s21, 0
	s_ashr_i32 s1, s0, 31
	s_add_u32 s16, s24, s16
	s_addc_u32 s17, s25, s17
	s_load_dwordx2 s[16:17], s[16:17], 0x0
	v_mad_i64_i32 v[2:3], s[22:23], s18, v0, 0
	s_lshl_b64 s[22:23], s[26:27], 3
	s_lshl_b64 s[0:1], s[0:1], 3
	s_waitcnt lgkmcnt(0)
	s_add_u32 s0, s16, s0
	s_addc_u32 s1, s17, s1
	s_add_u32 s0, s0, s22
	s_addc_u32 s1, s1, s23
	v_lshl_add_u64 v[2:3], v[2:3], 3, s[0:1]
	s_lshl_b64 s[18:19], s[18:19], 13
	s_mov_b64 s[16:17], 0
	v_mov_b32_e32 v4, v1
	v_mov_b32_e32 v5, v0
.LBB26_2:                               ; =>This Inner Loop Header: Depth=1
	flat_load_dwordx2 v[6:7], v[2:3]
	v_add_u32_e32 v5, 0x400, v5
	v_cmp_le_i32_e64 s[0:1], s20, v5
	v_lshl_add_u64 v[2:3], v[2:3], 0, s[18:19]
	s_or_b64 s[16:17], s[0:1], s[16:17]
	s_waitcnt vmcnt(0) lgkmcnt(0)
	ds_write_b64 v4, v[6:7]
	v_add_u32_e32 v4, 0x2000, v4
	s_andn2_b64 exec, exec, s[16:17]
	s_cbranch_execnz .LBB26_2
; %bb.3:
	s_or_b64 exec, exec, s[16:17]
	s_lshl_b64 s[0:1], s[12:13], 3
	s_lshl_b64 s[16:17], s[14:15], 3
	s_add_u32 s0, s0, s16
	s_addc_u32 s1, s1, s17
	s_add_u32 s0, s6, s0
	v_lshlrev_b32_e32 v2, 3, v0
	v_mov_b32_e32 v3, 0
	s_addc_u32 s1, s7, s1
	v_lshl_add_u64 v[4:5], s[0:1], 0, v[2:3]
	s_mov_b64 s[16:17], 0
	s_mov_b64 s[18:19], 0x2000
	v_mov_b32_e32 v6, v0
	v_mov_b32_e32 v2, v3
.LBB26_4:                               ; =>This Inner Loop Header: Depth=1
	flat_load_dwordx2 v[8:9], v[4:5]
	ds_read_b64 v[10:11], v1
	v_add_u32_e32 v6, 0x400, v6
	v_cmp_le_i32_e64 s[0:1], s20, v6
	v_add_u32_e32 v1, 0x2000, v1
	v_lshl_add_u64 v[4:5], v[4:5], 0, s[18:19]
	s_or_b64 s[16:17], s[0:1], s[16:17]
	s_waitcnt vmcnt(0) lgkmcnt(0)
	v_mul_f32_e32 v12, v8, v10
	v_mul_f32_e32 v14, v9, v10
	v_pk_fma_f32 v[12:13], v[8:9], v[10:11], v[12:13] op_sel_hi:[1,1,0]
	v_pk_fma_f32 v[8:9], v[8:9], v[10:11], v[14:15] op_sel:[0,1,0] op_sel_hi:[1,0,0] neg_lo:[0,0,1] neg_hi:[0,0,1]
	s_nop 0
	v_mov_b32_e32 v9, v13
	v_pk_add_f32 v[2:3], v[2:3], v[8:9]
	s_andn2_b64 exec, exec, s[16:17]
	s_cbranch_execnz .LBB26_4
; %bb.5:
	s_or_b64 exec, exec, s[16:17]
	v_mov_b32_e32 v5, v2
	v_mov_b32_e32 v4, v3
.LBB26_6:
	s_or_b64 exec, exec, s[2:3]
	v_mbcnt_lo_u32_b32 v1, -1, 0
	v_mbcnt_hi_u32_b32 v1, -1, v1
	v_and_b32_e32 v6, 63, v1
	v_cmp_ne_u32_e64 s[0:1], 63, v6
	s_nop 1
	v_addc_co_u32_e64 v2, s[0:1], 0, v1, s[0:1]
	v_lshlrev_b32_e32 v3, 2, v2
	ds_bpermute_b32 v2, v3, v4
	ds_bpermute_b32 v3, v3, v5
	v_cmp_gt_u32_e64 s[0:1], 62, v6
	s_waitcnt lgkmcnt(0)
	v_pk_add_f32 v[2:3], v[4:5], v[2:3]
	v_cndmask_b32_e64 v7, 0, 2, s[0:1]
	v_add_lshl_u32 v7, v7, v1, 2
	ds_bpermute_b32 v4, v7, v2
	ds_bpermute_b32 v5, v7, v3
	v_cmp_gt_u32_e64 s[0:1], 60, v6
	s_waitcnt lgkmcnt(0)
	v_pk_add_f32 v[2:3], v[2:3], v[4:5]
	v_cndmask_b32_e64 v7, 0, 4, s[0:1]
	v_add_lshl_u32 v7, v7, v1, 2
	;; [unrolled: 7-line block ×4, first 2 shown]
	ds_bpermute_b32 v4, v6, v2
	ds_bpermute_b32 v5, v6, v3
	v_mov_b32_e32 v6, 0x80
	v_lshl_or_b32 v1, v1, 2, v6
	s_waitcnt lgkmcnt(0)
	v_pk_add_f32 v[2:3], v[2:3], v[4:5]
	ds_bpermute_b32 v4, v1, v2
	ds_bpermute_b32 v5, v1, v3
	v_and_b32_e32 v1, 63, v0
	v_cmp_eq_u32_e64 s[0:1], 0, v1
	s_waitcnt lgkmcnt(0)
	v_pk_add_f32 v[2:3], v[2:3], v[4:5]
	s_and_saveexec_b64 s[2:3], s[0:1]
; %bb.7:
	v_lshrrev_b32_e32 v1, 3, v0
	v_add_u32_e32 v1, 0, v1
	ds_write2_b32 v1, v2, v3 offset1:1
; %bb.8:
	s_or_b64 exec, exec, s[2:3]
	v_cmp_eq_u32_e64 s[0:1], 0, v0
	s_waitcnt lgkmcnt(0)
	s_barrier
	s_and_saveexec_b64 s[2:3], s[0:1]
	s_cbranch_execz .LBB26_10
; %bb.9:
	v_mov_b32_e32 v1, 0
	ds_read2_b64 v[4:7], v1 offset0:1 offset1:2
	ds_read2_b64 v[8:11], v1 offset0:3 offset1:4
	;; [unrolled: 1-line block ×5, first 2 shown]
	s_waitcnt lgkmcnt(4)
	v_pk_add_f32 v[2:3], v[2:3], v[4:5]
	s_nop 0
	v_pk_add_f32 v[2:3], v[2:3], v[6:7]
	s_waitcnt lgkmcnt(3)
	v_pk_add_f32 v[2:3], v[2:3], v[8:9]
	s_nop 0
	v_pk_add_f32 v[2:3], v[2:3], v[10:11]
	s_waitcnt lgkmcnt(2)
	v_pk_add_f32 v[2:3], v[2:3], v[12:13]
	ds_read_b64 v[12:13], v1 offset:120
	v_pk_add_f32 v[2:3], v[2:3], v[14:15]
	s_waitcnt lgkmcnt(2)
	v_pk_add_f32 v[2:3], v[2:3], v[16:17]
	s_nop 0
	v_pk_add_f32 v[6:7], v[2:3], v[18:19]
	ds_read2_b64 v[2:5], v1 offset0:11 offset1:12
	s_waitcnt lgkmcnt(2)
	v_pk_add_f32 v[10:11], v[6:7], v[20:21]
	ds_read2_b64 v[6:9], v1 offset0:13 offset1:14
	v_pk_add_f32 v[10:11], v[10:11], v[22:23]
	s_waitcnt lgkmcnt(1)
	v_pk_add_f32 v[2:3], v[10:11], v[2:3]
	s_nop 0
	v_pk_add_f32 v[2:3], v[2:3], v[4:5]
	s_waitcnt lgkmcnt(0)
	v_pk_add_f32 v[2:3], v[2:3], v[6:7]
	s_nop 0
	v_pk_add_f32 v[2:3], v[2:3], v[8:9]
	s_nop 0
	v_pk_add_f32 v[2:3], v[2:3], v[12:13]
	ds_write_b64 v1, v[2:3]
.LBB26_10:
	s_or_b64 exec, exec, s[2:3]
	s_waitcnt lgkmcnt(0)
	s_barrier
	s_and_saveexec_b64 s[0:1], vcc
	s_cbranch_execz .LBB26_13
; %bb.11:
	s_mul_i32 s0, s10, s5
	s_mul_hi_u32 s1, s10, s4
	s_add_i32 s0, s1, s0
	s_mul_i32 s1, s11, s4
	s_add_i32 s1, s0, s1
	s_mul_i32 s0, s10, s4
	s_lshl_b64 s[0:1], s[0:1], 3
	s_add_u32 s0, s8, s0
	s_addc_u32 s1, s9, s1
	v_mov_b32_e32 v7, 0
	s_load_dwordx2 s[2:3], s[0:1], 0x0
	ds_read_b64 v[4:5], v7
	s_lshl_b64 s[0:1], s[12:13], 3
	v_lshlrev_b32_e32 v6, 3, v0
	s_waitcnt lgkmcnt(0)
	v_mul_f32_e32 v1, s3, v5
	v_fma_f32 v2, v4, -s2, -v1
	v_mul_f32_e32 v1, s3, v4
	v_fma_f32 v4, s2, v5, -v1
	s_lshl_b64 s[2:3], s[14:15], 3
	s_add_u32 s0, s0, s2
	s_addc_u32 s1, s1, s3
	s_add_u32 s0, s6, s0
	v_add_u32_e32 v1, 0, v6
	s_addc_u32 s1, s7, s1
	v_mov_b32_e32 v5, v4
	v_mov_b32_e32 v3, v2
	v_add_u32_e32 v1, 0x80, v1
	v_lshl_add_u64 v[6:7], s[0:1], 0, v[6:7]
	s_mov_b64 s[0:1], 0
	s_mov_b64 s[2:3], 0x2000
.LBB26_12:                              ; =>This Inner Loop Header: Depth=1
	flat_load_dwordx2 v[8:9], v[6:7]
	ds_read_b64 v[10:11], v1
	v_add_u32_e32 v0, 0x400, v0
	v_cmp_le_i32_e32 vcc, s20, v0
	v_add_u32_e32 v1, 0x2000, v1
	s_or_b64 s[0:1], vcc, s[0:1]
	s_waitcnt lgkmcnt(0)
	v_pk_mul_f32 v[12:13], v[4:5], v[10:11] op_sel:[0,1] op_sel_hi:[1,0]
	s_nop 0
	v_pk_fma_f32 v[14:15], v[2:3], v[10:11], v[12:13] neg_lo:[0,0,1] neg_hi:[0,0,1]
	v_pk_fma_f32 v[10:11], v[2:3], v[10:11], v[12:13]
	s_nop 0
	v_mov_b32_e32 v15, v11
	s_waitcnt vmcnt(0)
	v_pk_add_f32 v[8:9], v[8:9], v[14:15]
	flat_store_dwordx2 v[6:7], v[8:9]
	v_lshl_add_u64 v[6:7], v[6:7], 0, s[2:3]
	s_andn2_b64 exec, exec, s[0:1]
	s_cbranch_execnz .LBB26_12
.LBB26_13:
	s_endpgm
	.section	.rodata,"a",@progbits
	.p2align	6, 0x0
	.amdhsa_kernel _ZN9rocsolver6v33100L16larf_left_kernelILi1024E19rocblas_complex_numIfEiPKPS3_EEvT1_S7_T2_lS7_lPKT0_lS8_lS7_l
		.amdhsa_group_segment_fixed_size 0
		.amdhsa_private_segment_fixed_size 0
		.amdhsa_kernarg_size 88
		.amdhsa_user_sgpr_count 2
		.amdhsa_user_sgpr_dispatch_ptr 0
		.amdhsa_user_sgpr_queue_ptr 0
		.amdhsa_user_sgpr_kernarg_segment_ptr 1
		.amdhsa_user_sgpr_dispatch_id 0
		.amdhsa_user_sgpr_kernarg_preload_length 0
		.amdhsa_user_sgpr_kernarg_preload_offset 0
		.amdhsa_user_sgpr_private_segment_size 0
		.amdhsa_uses_dynamic_stack 0
		.amdhsa_enable_private_segment 0
		.amdhsa_system_sgpr_workgroup_id_x 1
		.amdhsa_system_sgpr_workgroup_id_y 1
		.amdhsa_system_sgpr_workgroup_id_z 1
		.amdhsa_system_sgpr_workgroup_info 0
		.amdhsa_system_vgpr_workitem_id 0
		.amdhsa_next_free_vgpr 24
		.amdhsa_next_free_sgpr 28
		.amdhsa_accum_offset 24
		.amdhsa_reserve_vcc 1
		.amdhsa_float_round_mode_32 0
		.amdhsa_float_round_mode_16_64 0
		.amdhsa_float_denorm_mode_32 3
		.amdhsa_float_denorm_mode_16_64 3
		.amdhsa_dx10_clamp 1
		.amdhsa_ieee_mode 1
		.amdhsa_fp16_overflow 0
		.amdhsa_tg_split 0
		.amdhsa_exception_fp_ieee_invalid_op 0
		.amdhsa_exception_fp_denorm_src 0
		.amdhsa_exception_fp_ieee_div_zero 0
		.amdhsa_exception_fp_ieee_overflow 0
		.amdhsa_exception_fp_ieee_underflow 0
		.amdhsa_exception_fp_ieee_inexact 0
		.amdhsa_exception_int_div_zero 0
	.end_amdhsa_kernel
	.section	.text._ZN9rocsolver6v33100L16larf_left_kernelILi1024E19rocblas_complex_numIfEiPKPS3_EEvT1_S7_T2_lS7_lPKT0_lS8_lS7_l,"axG",@progbits,_ZN9rocsolver6v33100L16larf_left_kernelILi1024E19rocblas_complex_numIfEiPKPS3_EEvT1_S7_T2_lS7_lPKT0_lS8_lS7_l,comdat
.Lfunc_end26:
	.size	_ZN9rocsolver6v33100L16larf_left_kernelILi1024E19rocblas_complex_numIfEiPKPS3_EEvT1_S7_T2_lS7_lPKT0_lS8_lS7_l, .Lfunc_end26-_ZN9rocsolver6v33100L16larf_left_kernelILi1024E19rocblas_complex_numIfEiPKPS3_EEvT1_S7_T2_lS7_lPKT0_lS8_lS7_l
                                        ; -- End function
	.set _ZN9rocsolver6v33100L16larf_left_kernelILi1024E19rocblas_complex_numIfEiPKPS3_EEvT1_S7_T2_lS7_lPKT0_lS8_lS7_l.num_vgpr, 24
	.set _ZN9rocsolver6v33100L16larf_left_kernelILi1024E19rocblas_complex_numIfEiPKPS3_EEvT1_S7_T2_lS7_lPKT0_lS8_lS7_l.num_agpr, 0
	.set _ZN9rocsolver6v33100L16larf_left_kernelILi1024E19rocblas_complex_numIfEiPKPS3_EEvT1_S7_T2_lS7_lPKT0_lS8_lS7_l.numbered_sgpr, 28
	.set _ZN9rocsolver6v33100L16larf_left_kernelILi1024E19rocblas_complex_numIfEiPKPS3_EEvT1_S7_T2_lS7_lPKT0_lS8_lS7_l.num_named_barrier, 0
	.set _ZN9rocsolver6v33100L16larf_left_kernelILi1024E19rocblas_complex_numIfEiPKPS3_EEvT1_S7_T2_lS7_lPKT0_lS8_lS7_l.private_seg_size, 0
	.set _ZN9rocsolver6v33100L16larf_left_kernelILi1024E19rocblas_complex_numIfEiPKPS3_EEvT1_S7_T2_lS7_lPKT0_lS8_lS7_l.uses_vcc, 1
	.set _ZN9rocsolver6v33100L16larf_left_kernelILi1024E19rocblas_complex_numIfEiPKPS3_EEvT1_S7_T2_lS7_lPKT0_lS8_lS7_l.uses_flat_scratch, 0
	.set _ZN9rocsolver6v33100L16larf_left_kernelILi1024E19rocblas_complex_numIfEiPKPS3_EEvT1_S7_T2_lS7_lPKT0_lS8_lS7_l.has_dyn_sized_stack, 0
	.set _ZN9rocsolver6v33100L16larf_left_kernelILi1024E19rocblas_complex_numIfEiPKPS3_EEvT1_S7_T2_lS7_lPKT0_lS8_lS7_l.has_recursion, 0
	.set _ZN9rocsolver6v33100L16larf_left_kernelILi1024E19rocblas_complex_numIfEiPKPS3_EEvT1_S7_T2_lS7_lPKT0_lS8_lS7_l.has_indirect_call, 0
	.section	.AMDGPU.csdata,"",@progbits
; Kernel info:
; codeLenInByte = 1396
; TotalNumSgprs: 34
; NumVgprs: 24
; NumAgprs: 0
; TotalNumVgprs: 24
; ScratchSize: 0
; MemoryBound: 0
; FloatMode: 240
; IeeeMode: 1
; LDSByteSize: 0 bytes/workgroup (compile time only)
; SGPRBlocks: 4
; VGPRBlocks: 2
; NumSGPRsForWavesPerEU: 34
; NumVGPRsForWavesPerEU: 24
; AccumOffset: 24
; Occupancy: 8
; WaveLimiterHint : 0
; COMPUTE_PGM_RSRC2:SCRATCH_EN: 0
; COMPUTE_PGM_RSRC2:USER_SGPR: 2
; COMPUTE_PGM_RSRC2:TRAP_HANDLER: 0
; COMPUTE_PGM_RSRC2:TGID_X_EN: 1
; COMPUTE_PGM_RSRC2:TGID_Y_EN: 1
; COMPUTE_PGM_RSRC2:TGID_Z_EN: 1
; COMPUTE_PGM_RSRC2:TIDIG_COMP_CNT: 0
; COMPUTE_PGM_RSRC3_GFX90A:ACCUM_OFFSET: 5
; COMPUTE_PGM_RSRC3_GFX90A:TG_SPLIT: 0
	.section	.text._ZN9rocsolver6v33100L17larf_right_kernelILi1024E19rocblas_complex_numIfEiPKPS3_EEvT1_S7_T2_lS7_lPKT0_lS8_lS7_l,"axG",@progbits,_ZN9rocsolver6v33100L17larf_right_kernelILi1024E19rocblas_complex_numIfEiPKPS3_EEvT1_S7_T2_lS7_lPKT0_lS8_lS7_l,comdat
	.globl	_ZN9rocsolver6v33100L17larf_right_kernelILi1024E19rocblas_complex_numIfEiPKPS3_EEvT1_S7_T2_lS7_lPKT0_lS8_lS7_l ; -- Begin function _ZN9rocsolver6v33100L17larf_right_kernelILi1024E19rocblas_complex_numIfEiPKPS3_EEvT1_S7_T2_lS7_lPKT0_lS8_lS7_l
	.p2align	8
	.type	_ZN9rocsolver6v33100L17larf_right_kernelILi1024E19rocblas_complex_numIfEiPKPS3_EEvT1_S7_T2_lS7_lPKT0_lS8_lS7_l,@function
_ZN9rocsolver6v33100L17larf_right_kernelILi1024E19rocblas_complex_numIfEiPKPS3_EEvT1_S7_T2_lS7_lPKT0_lS8_lS7_l: ; @_ZN9rocsolver6v33100L17larf_right_kernelILi1024E19rocblas_complex_numIfEiPKPS3_EEvT1_S7_T2_lS7_lPKT0_lS8_lS7_l
; %bb.0:
	s_load_dwordx8 s[8:15], s[0:1], 0x28
	s_load_dword s22, s[0:1], 0x4
	s_load_dword s6, s[0:1], 0x48
	s_ashr_i32 s5, s4, 31
	s_lshl_b64 s[18:19], s[4:5], 3
	s_waitcnt lgkmcnt(0)
	s_add_u32 s12, s12, s18
	s_addc_u32 s13, s13, s19
	s_load_dwordx2 s[12:13], s[12:13], 0x0
	v_mov_b32_e32 v3, 0
	s_mov_b32 s2, s3
	s_ashr_i32 s3, s3, 31
	v_cmp_gt_i32_e32 vcc, s22, v0
	v_lshl_add_u32 v1, v0, 3, 0
	v_mov_b32_e32 v2, v3
	s_and_saveexec_b64 s[16:17], vcc
	s_cbranch_execz .LBB27_6
; %bb.1:
	s_load_dword s20, s[0:1], 0x18
	s_load_dwordx4 s[24:27], s[0:1], 0x8
	s_sub_i32 s0, 1, s22
	v_add_u32_e32 v6, 0x80, v1
	v_mov_b32_e32 v4, v6
	s_waitcnt lgkmcnt(0)
	s_ashr_i32 s21, s20, 31
	s_mul_i32 s7, s20, s0
	v_cmp_lt_i64_e64 s[0:1], s[20:21], 1
	s_and_b64 s[0:1], s[0:1], exec
	s_cselect_b32 s0, s7, 0
	s_ashr_i32 s1, s0, 31
	s_add_u32 s18, s24, s18
	s_addc_u32 s19, s25, s19
	s_load_dwordx2 s[18:19], s[18:19], 0x0
	v_mad_i64_i32 v[2:3], s[24:25], s20, v0, 0
	s_lshl_b64 s[24:25], s[26:27], 3
	s_lshl_b64 s[0:1], s[0:1], 3
	s_waitcnt lgkmcnt(0)
	s_add_u32 s0, s18, s0
	s_addc_u32 s1, s19, s1
	s_add_u32 s0, s0, s24
	s_addc_u32 s1, s1, s25
	v_lshl_add_u64 v[2:3], v[2:3], 3, s[0:1]
	s_lshl_b64 s[20:21], s[20:21], 13
	s_mov_b64 s[18:19], 0
	v_mov_b32_e32 v5, v0
.LBB27_2:                               ; =>This Inner Loop Header: Depth=1
	flat_load_dwordx2 v[8:9], v[2:3]
	v_add_u32_e32 v5, 0x400, v5
	v_cmp_le_i32_e64 s[0:1], s22, v5
	v_lshl_add_u64 v[2:3], v[2:3], 0, s[20:21]
	s_or_b64 s[18:19], s[0:1], s[18:19]
	s_waitcnt vmcnt(0) lgkmcnt(0)
	ds_write_b64 v4, v[8:9]
	v_add_u32_e32 v4, 0x2000, v4
	s_andn2_b64 exec, exec, s[18:19]
	s_cbranch_execnz .LBB27_2
; %bb.3:
	s_or_b64 exec, exec, s[18:19]
	v_mad_i64_i32 v[2:3], s[0:1], s6, v0, 0
	s_ashr_i32 s7, s6, 31
	s_lshl_b64 s[0:1], s[14:15], 3
	s_lshl_b64 s[18:19], s[2:3], 3
	s_add_u32 s18, s12, s18
	s_addc_u32 s19, s13, s19
	s_add_u32 s0, s18, s0
	s_addc_u32 s1, s19, s1
	v_lshl_add_u64 v[4:5], v[2:3], 3, s[0:1]
	v_mov_b32_e32 v3, 0
	s_lshl_b64 s[18:19], s[6:7], 13
	s_mov_b64 s[20:21], 0
	v_mov_b32_e32 v7, v0
	v_mov_b32_e32 v2, v3
.LBB27_4:                               ; =>This Inner Loop Header: Depth=1
	flat_load_dwordx2 v[8:9], v[4:5]
	ds_read_b64 v[10:11], v6
	v_add_u32_e32 v7, 0x400, v7
	v_cmp_le_i32_e64 s[0:1], s22, v7
	v_add_u32_e32 v6, 0x2000, v6
	v_lshl_add_u64 v[4:5], v[4:5], 0, s[18:19]
	s_or_b64 s[20:21], s[0:1], s[20:21]
	s_waitcnt vmcnt(0) lgkmcnt(0)
	v_mul_f32_e32 v12, v11, v9
	v_mul_f32_e32 v9, v10, v9
	v_fma_f32 v10, v10, v8, -v12
	v_fmac_f32_e32 v9, v11, v8
	v_add_f32_e32 v2, v2, v10
	v_add_f32_e32 v3, v3, v9
	s_andn2_b64 exec, exec, s[20:21]
	s_cbranch_execnz .LBB27_4
; %bb.5:
	s_or_b64 exec, exec, s[20:21]
.LBB27_6:
	s_or_b64 exec, exec, s[16:17]
	v_mbcnt_lo_u32_b32 v4, -1, 0
	v_mbcnt_hi_u32_b32 v6, -1, v4
	v_and_b32_e32 v7, 63, v6
	v_cmp_ne_u32_e64 s[0:1], 63, v7
	s_nop 1
	v_addc_co_u32_e64 v4, s[0:1], 0, v6, s[0:1]
	v_lshlrev_b32_e32 v5, 2, v4
	ds_bpermute_b32 v4, v5, v2
	ds_bpermute_b32 v5, v5, v3
	v_cmp_gt_u32_e64 s[0:1], 62, v7
	s_waitcnt lgkmcnt(0)
	v_pk_add_f32 v[2:3], v[2:3], v[4:5]
	v_cndmask_b32_e64 v8, 0, 2, s[0:1]
	v_add_lshl_u32 v8, v8, v6, 2
	ds_bpermute_b32 v4, v8, v2
	ds_bpermute_b32 v5, v8, v3
	v_cmp_gt_u32_e64 s[0:1], 60, v7
	s_waitcnt lgkmcnt(0)
	v_pk_add_f32 v[2:3], v[2:3], v[4:5]
	v_cndmask_b32_e64 v8, 0, 4, s[0:1]
	v_add_lshl_u32 v8, v8, v6, 2
	;; [unrolled: 7-line block ×4, first 2 shown]
	ds_bpermute_b32 v4, v7, v2
	ds_bpermute_b32 v5, v7, v3
	v_mov_b32_e32 v7, 0x80
	v_lshl_or_b32 v6, v6, 2, v7
	s_waitcnt lgkmcnt(0)
	v_pk_add_f32 v[2:3], v[2:3], v[4:5]
	ds_bpermute_b32 v4, v6, v2
	ds_bpermute_b32 v5, v6, v3
	v_and_b32_e32 v6, 63, v0
	v_cmp_eq_u32_e64 s[0:1], 0, v6
	s_waitcnt lgkmcnt(0)
	v_pk_add_f32 v[2:3], v[2:3], v[4:5]
	s_and_saveexec_b64 s[16:17], s[0:1]
; %bb.7:
	v_lshrrev_b32_e32 v4, 3, v0
	v_add_u32_e32 v4, 0, v4
	ds_write2_b32 v4, v2, v3 offset1:1
; %bb.8:
	s_or_b64 exec, exec, s[16:17]
	v_cmp_eq_u32_e64 s[0:1], 0, v0
	s_waitcnt lgkmcnt(0)
	s_barrier
	s_and_saveexec_b64 s[16:17], s[0:1]
	s_cbranch_execz .LBB27_10
; %bb.9:
	v_mov_b32_e32 v24, 0
	ds_read2_b64 v[4:7], v24 offset0:1 offset1:2
	ds_read2_b64 v[8:11], v24 offset0:3 offset1:4
	;; [unrolled: 1-line block ×5, first 2 shown]
	s_waitcnt lgkmcnt(4)
	v_pk_add_f32 v[2:3], v[2:3], v[4:5]
	s_nop 0
	v_pk_add_f32 v[2:3], v[2:3], v[6:7]
	s_waitcnt lgkmcnt(3)
	v_pk_add_f32 v[2:3], v[2:3], v[8:9]
	s_nop 0
	v_pk_add_f32 v[2:3], v[2:3], v[10:11]
	s_waitcnt lgkmcnt(2)
	v_pk_add_f32 v[2:3], v[2:3], v[12:13]
	ds_read_b64 v[12:13], v24 offset:120
	v_pk_add_f32 v[2:3], v[2:3], v[14:15]
	s_waitcnt lgkmcnt(2)
	v_pk_add_f32 v[2:3], v[2:3], v[16:17]
	s_nop 0
	v_pk_add_f32 v[6:7], v[2:3], v[18:19]
	ds_read2_b64 v[2:5], v24 offset0:11 offset1:12
	s_waitcnt lgkmcnt(2)
	v_pk_add_f32 v[10:11], v[6:7], v[20:21]
	ds_read2_b64 v[6:9], v24 offset0:13 offset1:14
	v_pk_add_f32 v[10:11], v[10:11], v[22:23]
	s_waitcnt lgkmcnt(1)
	v_pk_add_f32 v[2:3], v[10:11], v[2:3]
	s_nop 0
	v_pk_add_f32 v[2:3], v[2:3], v[4:5]
	s_waitcnt lgkmcnt(0)
	v_pk_add_f32 v[2:3], v[2:3], v[6:7]
	s_nop 0
	v_pk_add_f32 v[2:3], v[2:3], v[8:9]
	s_nop 0
	v_pk_add_f32 v[2:3], v[2:3], v[12:13]
	ds_write_b64 v24, v[2:3]
.LBB27_10:
	s_or_b64 exec, exec, s[16:17]
	s_waitcnt lgkmcnt(0)
	s_barrier
	s_and_saveexec_b64 s[0:1], vcc
	s_cbranch_execz .LBB27_13
; %bb.11:
	s_mul_i32 s0, s10, s5
	s_mul_hi_u32 s1, s10, s4
	s_add_i32 s0, s1, s0
	s_mul_i32 s1, s11, s4
	s_add_i32 s1, s0, s1
	s_mul_i32 s0, s10, s4
	s_lshl_b64 s[0:1], s[0:1], 3
	s_add_u32 s0, s8, s0
	s_addc_u32 s1, s9, s1
	v_mov_b32_e32 v2, 0
	ds_read_b64 v[4:5], v2
	s_load_dwordx2 s[4:5], s[0:1], 0x0
	v_mad_i64_i32 v[6:7], s[0:1], s6, v0, 0
	s_ashr_i32 s7, s6, 31
	s_lshl_b64 s[0:1], s[14:15], 3
	s_lshl_b64 s[2:3], s[2:3], 3
	s_add_u32 s2, s12, s2
	s_addc_u32 s3, s13, s3
	s_waitcnt lgkmcnt(0)
	v_mul_f32_e32 v2, s4, v5
	v_mul_f32_e32 v3, s4, v4
	s_add_u32 s0, s2, s0
	v_fma_f32 v2, v4, -s5, -v2
	v_fma_f32 v4, s5, v5, -v3
	s_addc_u32 s1, s3, s1
	v_mov_b32_e32 v5, v4
	v_mov_b32_e32 v3, v2
	v_add_u32_e32 v1, 0x80, v1
	v_lshl_add_u64 v[6:7], v[6:7], 3, s[0:1]
	s_lshl_b64 s[0:1], s[6:7], 13
	s_mov_b64 s[2:3], 0
.LBB27_12:                              ; =>This Inner Loop Header: Depth=1
	flat_load_dwordx2 v[8:9], v[6:7]
	ds_read_b64 v[10:11], v1
	v_add_u32_e32 v0, 0x400, v0
	v_cmp_le_i32_e32 vcc, s22, v0
	v_add_u32_e32 v1, 0x2000, v1
	s_or_b64 s[2:3], vcc, s[2:3]
	s_waitcnt lgkmcnt(0)
	v_pk_mul_f32 v[12:13], v[4:5], v[10:11]
	s_nop 0
	v_pk_fma_f32 v[14:15], v[2:3], v[10:11], v[12:13] op_sel:[0,1,0] op_sel_hi:[1,0,1]
	v_pk_fma_f32 v[10:11], v[2:3], v[10:11], v[12:13] op_sel:[0,1,0] op_sel_hi:[1,0,1] neg_lo:[0,0,1] neg_hi:[0,0,1]
	s_nop 0
	v_mov_b32_e32 v15, v11
	s_waitcnt vmcnt(0)
	v_pk_add_f32 v[8:9], v[8:9], v[14:15]
	flat_store_dwordx2 v[6:7], v[8:9]
	v_lshl_add_u64 v[6:7], v[6:7], 0, s[0:1]
	s_andn2_b64 exec, exec, s[2:3]
	s_cbranch_execnz .LBB27_12
.LBB27_13:
	s_endpgm
	.section	.rodata,"a",@progbits
	.p2align	6, 0x0
	.amdhsa_kernel _ZN9rocsolver6v33100L17larf_right_kernelILi1024E19rocblas_complex_numIfEiPKPS3_EEvT1_S7_T2_lS7_lPKT0_lS8_lS7_l
		.amdhsa_group_segment_fixed_size 0
		.amdhsa_private_segment_fixed_size 0
		.amdhsa_kernarg_size 88
		.amdhsa_user_sgpr_count 2
		.amdhsa_user_sgpr_dispatch_ptr 0
		.amdhsa_user_sgpr_queue_ptr 0
		.amdhsa_user_sgpr_kernarg_segment_ptr 1
		.amdhsa_user_sgpr_dispatch_id 0
		.amdhsa_user_sgpr_kernarg_preload_length 0
		.amdhsa_user_sgpr_kernarg_preload_offset 0
		.amdhsa_user_sgpr_private_segment_size 0
		.amdhsa_uses_dynamic_stack 0
		.amdhsa_enable_private_segment 0
		.amdhsa_system_sgpr_workgroup_id_x 1
		.amdhsa_system_sgpr_workgroup_id_y 1
		.amdhsa_system_sgpr_workgroup_id_z 1
		.amdhsa_system_sgpr_workgroup_info 0
		.amdhsa_system_vgpr_workitem_id 0
		.amdhsa_next_free_vgpr 25
		.amdhsa_next_free_sgpr 28
		.amdhsa_accum_offset 28
		.amdhsa_reserve_vcc 1
		.amdhsa_float_round_mode_32 0
		.amdhsa_float_round_mode_16_64 0
		.amdhsa_float_denorm_mode_32 3
		.amdhsa_float_denorm_mode_16_64 3
		.amdhsa_dx10_clamp 1
		.amdhsa_ieee_mode 1
		.amdhsa_fp16_overflow 0
		.amdhsa_tg_split 0
		.amdhsa_exception_fp_ieee_invalid_op 0
		.amdhsa_exception_fp_denorm_src 0
		.amdhsa_exception_fp_ieee_div_zero 0
		.amdhsa_exception_fp_ieee_overflow 0
		.amdhsa_exception_fp_ieee_underflow 0
		.amdhsa_exception_fp_ieee_inexact 0
		.amdhsa_exception_int_div_zero 0
	.end_amdhsa_kernel
	.section	.text._ZN9rocsolver6v33100L17larf_right_kernelILi1024E19rocblas_complex_numIfEiPKPS3_EEvT1_S7_T2_lS7_lPKT0_lS8_lS7_l,"axG",@progbits,_ZN9rocsolver6v33100L17larf_right_kernelILi1024E19rocblas_complex_numIfEiPKPS3_EEvT1_S7_T2_lS7_lPKT0_lS8_lS7_l,comdat
.Lfunc_end27:
	.size	_ZN9rocsolver6v33100L17larf_right_kernelILi1024E19rocblas_complex_numIfEiPKPS3_EEvT1_S7_T2_lS7_lPKT0_lS8_lS7_l, .Lfunc_end27-_ZN9rocsolver6v33100L17larf_right_kernelILi1024E19rocblas_complex_numIfEiPKPS3_EEvT1_S7_T2_lS7_lPKT0_lS8_lS7_l
                                        ; -- End function
	.set _ZN9rocsolver6v33100L17larf_right_kernelILi1024E19rocblas_complex_numIfEiPKPS3_EEvT1_S7_T2_lS7_lPKT0_lS8_lS7_l.num_vgpr, 25
	.set _ZN9rocsolver6v33100L17larf_right_kernelILi1024E19rocblas_complex_numIfEiPKPS3_EEvT1_S7_T2_lS7_lPKT0_lS8_lS7_l.num_agpr, 0
	.set _ZN9rocsolver6v33100L17larf_right_kernelILi1024E19rocblas_complex_numIfEiPKPS3_EEvT1_S7_T2_lS7_lPKT0_lS8_lS7_l.numbered_sgpr, 28
	.set _ZN9rocsolver6v33100L17larf_right_kernelILi1024E19rocblas_complex_numIfEiPKPS3_EEvT1_S7_T2_lS7_lPKT0_lS8_lS7_l.num_named_barrier, 0
	.set _ZN9rocsolver6v33100L17larf_right_kernelILi1024E19rocblas_complex_numIfEiPKPS3_EEvT1_S7_T2_lS7_lPKT0_lS8_lS7_l.private_seg_size, 0
	.set _ZN9rocsolver6v33100L17larf_right_kernelILi1024E19rocblas_complex_numIfEiPKPS3_EEvT1_S7_T2_lS7_lPKT0_lS8_lS7_l.uses_vcc, 1
	.set _ZN9rocsolver6v33100L17larf_right_kernelILi1024E19rocblas_complex_numIfEiPKPS3_EEvT1_S7_T2_lS7_lPKT0_lS8_lS7_l.uses_flat_scratch, 0
	.set _ZN9rocsolver6v33100L17larf_right_kernelILi1024E19rocblas_complex_numIfEiPKPS3_EEvT1_S7_T2_lS7_lPKT0_lS8_lS7_l.has_dyn_sized_stack, 0
	.set _ZN9rocsolver6v33100L17larf_right_kernelILi1024E19rocblas_complex_numIfEiPKPS3_EEvT1_S7_T2_lS7_lPKT0_lS8_lS7_l.has_recursion, 0
	.set _ZN9rocsolver6v33100L17larf_right_kernelILi1024E19rocblas_complex_numIfEiPKPS3_EEvT1_S7_T2_lS7_lPKT0_lS8_lS7_l.has_indirect_call, 0
	.section	.AMDGPU.csdata,"",@progbits
; Kernel info:
; codeLenInByte = 1380
; TotalNumSgprs: 34
; NumVgprs: 25
; NumAgprs: 0
; TotalNumVgprs: 25
; ScratchSize: 0
; MemoryBound: 0
; FloatMode: 240
; IeeeMode: 1
; LDSByteSize: 0 bytes/workgroup (compile time only)
; SGPRBlocks: 4
; VGPRBlocks: 3
; NumSGPRsForWavesPerEU: 34
; NumVGPRsForWavesPerEU: 25
; AccumOffset: 28
; Occupancy: 8
; WaveLimiterHint : 0
; COMPUTE_PGM_RSRC2:SCRATCH_EN: 0
; COMPUTE_PGM_RSRC2:USER_SGPR: 2
; COMPUTE_PGM_RSRC2:TRAP_HANDLER: 0
; COMPUTE_PGM_RSRC2:TGID_X_EN: 1
; COMPUTE_PGM_RSRC2:TGID_Y_EN: 1
; COMPUTE_PGM_RSRC2:TGID_Z_EN: 1
; COMPUTE_PGM_RSRC2:TIDIG_COMP_CNT: 0
; COMPUTE_PGM_RSRC3_GFX90A:ACCUM_OFFSET: 6
; COMPUTE_PGM_RSRC3_GFX90A:TG_SPLIT: 0
	.section	.text._ZN9rocsolver6v33100L9get_arrayI19rocblas_complex_numIfEiEEvPPT_S5_lT0_,"axG",@progbits,_ZN9rocsolver6v33100L9get_arrayI19rocblas_complex_numIfEiEEvPPT_S5_lT0_,comdat
	.globl	_ZN9rocsolver6v33100L9get_arrayI19rocblas_complex_numIfEiEEvPPT_S5_lT0_ ; -- Begin function _ZN9rocsolver6v33100L9get_arrayI19rocblas_complex_numIfEiEEvPPT_S5_lT0_
	.p2align	8
	.type	_ZN9rocsolver6v33100L9get_arrayI19rocblas_complex_numIfEiEEvPPT_S5_lT0_,@function
_ZN9rocsolver6v33100L9get_arrayI19rocblas_complex_numIfEiEEvPPT_S5_lT0_: ; @_ZN9rocsolver6v33100L9get_arrayI19rocblas_complex_numIfEiEEvPPT_S5_lT0_
; %bb.0:
	s_load_dword s3, s[0:1], 0x2c
	s_load_dword s4, s[0:1], 0x18
	s_waitcnt lgkmcnt(0)
	s_and_b32 s3, s3, 0xffff
	s_mul_i32 s2, s2, s3
	v_add_u32_e32 v0, s2, v0
	v_cmp_gt_i32_e32 vcc, s4, v0
	s_and_saveexec_b64 s[2:3], vcc
	s_cbranch_execz .LBB28_2
; %bb.1:
	s_load_dwordx4 s[4:7], s[0:1], 0x0
	s_load_dwordx2 s[2:3], s[0:1], 0x10
	v_ashrrev_i32_e32 v1, 31, v0
	s_waitcnt lgkmcnt(0)
	v_mov_b32_e32 v2, s4
	v_mul_lo_u32 v8, s3, v0
	v_mul_lo_u32 v9, s2, v1
	v_mad_u64_u32 v[6:7], s[0:1], s2, v0, 0
	v_mov_b32_e32 v3, s5
	v_mov_b32_e32 v4, s6
	;; [unrolled: 1-line block ×3, first 2 shown]
	v_add3_u32 v7, v7, v9, v8
	v_lshl_add_u64 v[4:5], v[6:7], 3, v[4:5]
	v_lshl_add_u64 v[0:1], v[0:1], 3, v[2:3]
	global_store_dwordx2 v[0:1], v[4:5], off
.LBB28_2:
	s_endpgm
	.section	.rodata,"a",@progbits
	.p2align	6, 0x0
	.amdhsa_kernel _ZN9rocsolver6v33100L9get_arrayI19rocblas_complex_numIfEiEEvPPT_S5_lT0_
		.amdhsa_group_segment_fixed_size 0
		.amdhsa_private_segment_fixed_size 0
		.amdhsa_kernarg_size 288
		.amdhsa_user_sgpr_count 2
		.amdhsa_user_sgpr_dispatch_ptr 0
		.amdhsa_user_sgpr_queue_ptr 0
		.amdhsa_user_sgpr_kernarg_segment_ptr 1
		.amdhsa_user_sgpr_dispatch_id 0
		.amdhsa_user_sgpr_kernarg_preload_length 0
		.amdhsa_user_sgpr_kernarg_preload_offset 0
		.amdhsa_user_sgpr_private_segment_size 0
		.amdhsa_uses_dynamic_stack 0
		.amdhsa_enable_private_segment 0
		.amdhsa_system_sgpr_workgroup_id_x 1
		.amdhsa_system_sgpr_workgroup_id_y 0
		.amdhsa_system_sgpr_workgroup_id_z 0
		.amdhsa_system_sgpr_workgroup_info 0
		.amdhsa_system_vgpr_workitem_id 0
		.amdhsa_next_free_vgpr 10
		.amdhsa_next_free_sgpr 8
		.amdhsa_accum_offset 12
		.amdhsa_reserve_vcc 1
		.amdhsa_float_round_mode_32 0
		.amdhsa_float_round_mode_16_64 0
		.amdhsa_float_denorm_mode_32 3
		.amdhsa_float_denorm_mode_16_64 3
		.amdhsa_dx10_clamp 1
		.amdhsa_ieee_mode 1
		.amdhsa_fp16_overflow 0
		.amdhsa_tg_split 0
		.amdhsa_exception_fp_ieee_invalid_op 0
		.amdhsa_exception_fp_denorm_src 0
		.amdhsa_exception_fp_ieee_div_zero 0
		.amdhsa_exception_fp_ieee_overflow 0
		.amdhsa_exception_fp_ieee_underflow 0
		.amdhsa_exception_fp_ieee_inexact 0
		.amdhsa_exception_int_div_zero 0
	.end_amdhsa_kernel
	.section	.text._ZN9rocsolver6v33100L9get_arrayI19rocblas_complex_numIfEiEEvPPT_S5_lT0_,"axG",@progbits,_ZN9rocsolver6v33100L9get_arrayI19rocblas_complex_numIfEiEEvPPT_S5_lT0_,comdat
.Lfunc_end28:
	.size	_ZN9rocsolver6v33100L9get_arrayI19rocblas_complex_numIfEiEEvPPT_S5_lT0_, .Lfunc_end28-_ZN9rocsolver6v33100L9get_arrayI19rocblas_complex_numIfEiEEvPPT_S5_lT0_
                                        ; -- End function
	.set _ZN9rocsolver6v33100L9get_arrayI19rocblas_complex_numIfEiEEvPPT_S5_lT0_.num_vgpr, 10
	.set _ZN9rocsolver6v33100L9get_arrayI19rocblas_complex_numIfEiEEvPPT_S5_lT0_.num_agpr, 0
	.set _ZN9rocsolver6v33100L9get_arrayI19rocblas_complex_numIfEiEEvPPT_S5_lT0_.numbered_sgpr, 8
	.set _ZN9rocsolver6v33100L9get_arrayI19rocblas_complex_numIfEiEEvPPT_S5_lT0_.num_named_barrier, 0
	.set _ZN9rocsolver6v33100L9get_arrayI19rocblas_complex_numIfEiEEvPPT_S5_lT0_.private_seg_size, 0
	.set _ZN9rocsolver6v33100L9get_arrayI19rocblas_complex_numIfEiEEvPPT_S5_lT0_.uses_vcc, 1
	.set _ZN9rocsolver6v33100L9get_arrayI19rocblas_complex_numIfEiEEvPPT_S5_lT0_.uses_flat_scratch, 0
	.set _ZN9rocsolver6v33100L9get_arrayI19rocblas_complex_numIfEiEEvPPT_S5_lT0_.has_dyn_sized_stack, 0
	.set _ZN9rocsolver6v33100L9get_arrayI19rocblas_complex_numIfEiEEvPPT_S5_lT0_.has_recursion, 0
	.set _ZN9rocsolver6v33100L9get_arrayI19rocblas_complex_numIfEiEEvPPT_S5_lT0_.has_indirect_call, 0
	.section	.AMDGPU.csdata,"",@progbits
; Kernel info:
; codeLenInByte = 148
; TotalNumSgprs: 14
; NumVgprs: 10
; NumAgprs: 0
; TotalNumVgprs: 10
; ScratchSize: 0
; MemoryBound: 0
; FloatMode: 240
; IeeeMode: 1
; LDSByteSize: 0 bytes/workgroup (compile time only)
; SGPRBlocks: 1
; VGPRBlocks: 1
; NumSGPRsForWavesPerEU: 14
; NumVGPRsForWavesPerEU: 10
; AccumOffset: 12
; Occupancy: 8
; WaveLimiterHint : 0
; COMPUTE_PGM_RSRC2:SCRATCH_EN: 0
; COMPUTE_PGM_RSRC2:USER_SGPR: 2
; COMPUTE_PGM_RSRC2:TRAP_HANDLER: 0
; COMPUTE_PGM_RSRC2:TGID_X_EN: 1
; COMPUTE_PGM_RSRC2:TGID_Y_EN: 0
; COMPUTE_PGM_RSRC2:TGID_Z_EN: 0
; COMPUTE_PGM_RSRC2:TIDIG_COMP_CNT: 0
; COMPUTE_PGM_RSRC3_GFX90A:ACCUM_OFFSET: 2
; COMPUTE_PGM_RSRC3_GFX90A:TG_SPLIT: 0
	.section	.text._ZN9rocsolver6v33100L12restore_diagI19rocblas_complex_numIfEifPKPS3_EEvPT1_llT2_lT0_lSA_,"axG",@progbits,_ZN9rocsolver6v33100L12restore_diagI19rocblas_complex_numIfEifPKPS3_EEvPT1_llT2_lT0_lSA_,comdat
	.globl	_ZN9rocsolver6v33100L12restore_diagI19rocblas_complex_numIfEifPKPS3_EEvPT1_llT2_lT0_lSA_ ; -- Begin function _ZN9rocsolver6v33100L12restore_diagI19rocblas_complex_numIfEifPKPS3_EEvPT1_llT2_lT0_lSA_
	.p2align	8
	.type	_ZN9rocsolver6v33100L12restore_diagI19rocblas_complex_numIfEifPKPS3_EEvPT1_llT2_lT0_lSA_,@function
_ZN9rocsolver6v33100L12restore_diagI19rocblas_complex_numIfEifPKPS3_EEvPT1_llT2_lT0_lSA_: ; @_ZN9rocsolver6v33100L12restore_diagI19rocblas_complex_numIfEifPKPS3_EEvPT1_llT2_lT0_lSA_
; %bb.0:
	s_load_dword s4, s[0:1], 0x4c
	s_load_dword s5, s[0:1], 0x38
	v_bfe_u32 v0, v0, 10, 10
	s_waitcnt lgkmcnt(0)
	s_lshr_b32 s4, s4, 16
	s_mul_i32 s3, s3, s4
	v_add_u32_e32 v0, s3, v0
	v_cmp_gt_i32_e32 vcc, s5, v0
	s_and_saveexec_b64 s[4:5], vcc
	s_cbranch_execz .LBB29_2
; %bb.1:
	s_load_dwordx8 s[4:11], s[0:1], 0x0
	s_load_dwordx2 s[12:13], s[0:1], 0x20
	s_ashr_i32 s3, s2, 31
	s_lshl_b64 s[14:15], s[2:3], 3
	s_waitcnt lgkmcnt(0)
	s_add_u32 s10, s10, s14
	s_addc_u32 s11, s11, s15
	s_load_dwordx2 s[14:15], s[10:11], 0x0
	s_load_dword s16, s[0:1], 0x28
	s_lshl_b64 s[0:1], s[12:13], 3
	s_mul_hi_u32 s10, s8, s2
	s_mul_i32 s3, s8, s3
	s_waitcnt lgkmcnt(0)
	s_add_u32 s0, s14, s0
	s_addc_u32 s1, s15, s1
	s_add_i32 s3, s10, s3
	s_mul_i32 s9, s9, s2
	s_add_i32 s3, s3, s9
	s_mul_i32 s2, s8, s2
	s_lshl_b64 s[2:3], s[2:3], 2
	s_add_u32 s4, s4, s2
	s_addc_u32 s5, s5, s3
	s_lshl_b64 s[2:3], s[6:7], 2
	s_add_u32 s2, s4, s2
	s_addc_u32 s3, s5, s3
	v_mad_u64_u32 v[2:3], s[4:5], v0, s16, v[0:1]
	v_ashrrev_i32_e32 v1, 31, v0
	v_lshl_add_u64 v[0:1], v[0:1], 2, s[2:3]
	global_load_dword v0, v[0:1], off
	v_ashrrev_i32_e32 v3, 31, v2
	v_lshl_add_u64 v[2:3], v[2:3], 3, s[0:1]
	v_mov_b32_e32 v1, 0
	s_waitcnt vmcnt(0)
	flat_store_dwordx2 v[2:3], v[0:1]
.LBB29_2:
	s_endpgm
	.section	.rodata,"a",@progbits
	.p2align	6, 0x0
	.amdhsa_kernel _ZN9rocsolver6v33100L12restore_diagI19rocblas_complex_numIfEifPKPS3_EEvPT1_llT2_lT0_lSA_
		.amdhsa_group_segment_fixed_size 0
		.amdhsa_private_segment_fixed_size 0
		.amdhsa_kernarg_size 320
		.amdhsa_user_sgpr_count 2
		.amdhsa_user_sgpr_dispatch_ptr 0
		.amdhsa_user_sgpr_queue_ptr 0
		.amdhsa_user_sgpr_kernarg_segment_ptr 1
		.amdhsa_user_sgpr_dispatch_id 0
		.amdhsa_user_sgpr_kernarg_preload_length 0
		.amdhsa_user_sgpr_kernarg_preload_offset 0
		.amdhsa_user_sgpr_private_segment_size 0
		.amdhsa_uses_dynamic_stack 0
		.amdhsa_enable_private_segment 0
		.amdhsa_system_sgpr_workgroup_id_x 1
		.amdhsa_system_sgpr_workgroup_id_y 1
		.amdhsa_system_sgpr_workgroup_id_z 0
		.amdhsa_system_sgpr_workgroup_info 0
		.amdhsa_system_vgpr_workitem_id 1
		.amdhsa_next_free_vgpr 4
		.amdhsa_next_free_sgpr 17
		.amdhsa_accum_offset 4
		.amdhsa_reserve_vcc 1
		.amdhsa_float_round_mode_32 0
		.amdhsa_float_round_mode_16_64 0
		.amdhsa_float_denorm_mode_32 3
		.amdhsa_float_denorm_mode_16_64 3
		.amdhsa_dx10_clamp 1
		.amdhsa_ieee_mode 1
		.amdhsa_fp16_overflow 0
		.amdhsa_tg_split 0
		.amdhsa_exception_fp_ieee_invalid_op 0
		.amdhsa_exception_fp_denorm_src 0
		.amdhsa_exception_fp_ieee_div_zero 0
		.amdhsa_exception_fp_ieee_overflow 0
		.amdhsa_exception_fp_ieee_underflow 0
		.amdhsa_exception_fp_ieee_inexact 0
		.amdhsa_exception_int_div_zero 0
	.end_amdhsa_kernel
	.section	.text._ZN9rocsolver6v33100L12restore_diagI19rocblas_complex_numIfEifPKPS3_EEvPT1_llT2_lT0_lSA_,"axG",@progbits,_ZN9rocsolver6v33100L12restore_diagI19rocblas_complex_numIfEifPKPS3_EEvPT1_llT2_lT0_lSA_,comdat
.Lfunc_end29:
	.size	_ZN9rocsolver6v33100L12restore_diagI19rocblas_complex_numIfEifPKPS3_EEvPT1_llT2_lT0_lSA_, .Lfunc_end29-_ZN9rocsolver6v33100L12restore_diagI19rocblas_complex_numIfEifPKPS3_EEvPT1_llT2_lT0_lSA_
                                        ; -- End function
	.set _ZN9rocsolver6v33100L12restore_diagI19rocblas_complex_numIfEifPKPS3_EEvPT1_llT2_lT0_lSA_.num_vgpr, 4
	.set _ZN9rocsolver6v33100L12restore_diagI19rocblas_complex_numIfEifPKPS3_EEvPT1_llT2_lT0_lSA_.num_agpr, 0
	.set _ZN9rocsolver6v33100L12restore_diagI19rocblas_complex_numIfEifPKPS3_EEvPT1_llT2_lT0_lSA_.numbered_sgpr, 17
	.set _ZN9rocsolver6v33100L12restore_diagI19rocblas_complex_numIfEifPKPS3_EEvPT1_llT2_lT0_lSA_.num_named_barrier, 0
	.set _ZN9rocsolver6v33100L12restore_diagI19rocblas_complex_numIfEifPKPS3_EEvPT1_llT2_lT0_lSA_.private_seg_size, 0
	.set _ZN9rocsolver6v33100L12restore_diagI19rocblas_complex_numIfEifPKPS3_EEvPT1_llT2_lT0_lSA_.uses_vcc, 1
	.set _ZN9rocsolver6v33100L12restore_diagI19rocblas_complex_numIfEifPKPS3_EEvPT1_llT2_lT0_lSA_.uses_flat_scratch, 0
	.set _ZN9rocsolver6v33100L12restore_diagI19rocblas_complex_numIfEifPKPS3_EEvPT1_llT2_lT0_lSA_.has_dyn_sized_stack, 0
	.set _ZN9rocsolver6v33100L12restore_diagI19rocblas_complex_numIfEifPKPS3_EEvPT1_llT2_lT0_lSA_.has_recursion, 0
	.set _ZN9rocsolver6v33100L12restore_diagI19rocblas_complex_numIfEifPKPS3_EEvPT1_llT2_lT0_lSA_.has_indirect_call, 0
	.section	.AMDGPU.csdata,"",@progbits
; Kernel info:
; codeLenInByte = 228
; TotalNumSgprs: 23
; NumVgprs: 4
; NumAgprs: 0
; TotalNumVgprs: 4
; ScratchSize: 0
; MemoryBound: 0
; FloatMode: 240
; IeeeMode: 1
; LDSByteSize: 0 bytes/workgroup (compile time only)
; SGPRBlocks: 2
; VGPRBlocks: 0
; NumSGPRsForWavesPerEU: 23
; NumVGPRsForWavesPerEU: 4
; AccumOffset: 4
; Occupancy: 8
; WaveLimiterHint : 1
; COMPUTE_PGM_RSRC2:SCRATCH_EN: 0
; COMPUTE_PGM_RSRC2:USER_SGPR: 2
; COMPUTE_PGM_RSRC2:TRAP_HANDLER: 0
; COMPUTE_PGM_RSRC2:TGID_X_EN: 1
; COMPUTE_PGM_RSRC2:TGID_Y_EN: 1
; COMPUTE_PGM_RSRC2:TGID_Z_EN: 0
; COMPUTE_PGM_RSRC2:TIDIG_COMP_CNT: 1
; COMPUTE_PGM_RSRC3_GFX90A:ACCUM_OFFSET: 0
; COMPUTE_PGM_RSRC3_GFX90A:TG_SPLIT: 0
	.section	.text._ZN9rocsolver6v33100L6iota_nI19rocblas_complex_numIdEEEvPT_jS4_,"axG",@progbits,_ZN9rocsolver6v33100L6iota_nI19rocblas_complex_numIdEEEvPT_jS4_,comdat
	.globl	_ZN9rocsolver6v33100L6iota_nI19rocblas_complex_numIdEEEvPT_jS4_ ; -- Begin function _ZN9rocsolver6v33100L6iota_nI19rocblas_complex_numIdEEEvPT_jS4_
	.p2align	8
	.type	_ZN9rocsolver6v33100L6iota_nI19rocblas_complex_numIdEEEvPT_jS4_,@function
_ZN9rocsolver6v33100L6iota_nI19rocblas_complex_numIdEEEvPT_jS4_: ; @_ZN9rocsolver6v33100L6iota_nI19rocblas_complex_numIdEEEvPT_jS4_
; %bb.0:
	s_load_dword s2, s[0:1], 0x8
	s_waitcnt lgkmcnt(0)
	v_cmp_gt_u32_e32 vcc, s2, v0
	s_and_saveexec_b64 s[2:3], vcc
	s_cbranch_execz .LBB30_2
; %bb.1:
	s_load_dwordx4 s[4:7], s[0:1], 0x10
	s_load_dwordx2 s[2:3], s[0:1], 0x0
	v_lshlrev_b32_e32 v4, 4, v0
	v_cvt_f64_u32_e32 v[0:1], v0
	s_waitcnt lgkmcnt(0)
	v_add_f64 v[2:3], s[6:7], 0
	v_add_f64 v[0:1], s[4:5], v[0:1]
	global_store_dwordx4 v4, v[0:3], s[2:3]
.LBB30_2:
	s_endpgm
	.section	.rodata,"a",@progbits
	.p2align	6, 0x0
	.amdhsa_kernel _ZN9rocsolver6v33100L6iota_nI19rocblas_complex_numIdEEEvPT_jS4_
		.amdhsa_group_segment_fixed_size 0
		.amdhsa_private_segment_fixed_size 0
		.amdhsa_kernarg_size 32
		.amdhsa_user_sgpr_count 2
		.amdhsa_user_sgpr_dispatch_ptr 0
		.amdhsa_user_sgpr_queue_ptr 0
		.amdhsa_user_sgpr_kernarg_segment_ptr 1
		.amdhsa_user_sgpr_dispatch_id 0
		.amdhsa_user_sgpr_kernarg_preload_length 0
		.amdhsa_user_sgpr_kernarg_preload_offset 0
		.amdhsa_user_sgpr_private_segment_size 0
		.amdhsa_uses_dynamic_stack 0
		.amdhsa_enable_private_segment 0
		.amdhsa_system_sgpr_workgroup_id_x 1
		.amdhsa_system_sgpr_workgroup_id_y 0
		.amdhsa_system_sgpr_workgroup_id_z 0
		.amdhsa_system_sgpr_workgroup_info 0
		.amdhsa_system_vgpr_workitem_id 0
		.amdhsa_next_free_vgpr 5
		.amdhsa_next_free_sgpr 8
		.amdhsa_accum_offset 8
		.amdhsa_reserve_vcc 1
		.amdhsa_float_round_mode_32 0
		.amdhsa_float_round_mode_16_64 0
		.amdhsa_float_denorm_mode_32 3
		.amdhsa_float_denorm_mode_16_64 3
		.amdhsa_dx10_clamp 1
		.amdhsa_ieee_mode 1
		.amdhsa_fp16_overflow 0
		.amdhsa_tg_split 0
		.amdhsa_exception_fp_ieee_invalid_op 0
		.amdhsa_exception_fp_denorm_src 0
		.amdhsa_exception_fp_ieee_div_zero 0
		.amdhsa_exception_fp_ieee_overflow 0
		.amdhsa_exception_fp_ieee_underflow 0
		.amdhsa_exception_fp_ieee_inexact 0
		.amdhsa_exception_int_div_zero 0
	.end_amdhsa_kernel
	.section	.text._ZN9rocsolver6v33100L6iota_nI19rocblas_complex_numIdEEEvPT_jS4_,"axG",@progbits,_ZN9rocsolver6v33100L6iota_nI19rocblas_complex_numIdEEEvPT_jS4_,comdat
.Lfunc_end30:
	.size	_ZN9rocsolver6v33100L6iota_nI19rocblas_complex_numIdEEEvPT_jS4_, .Lfunc_end30-_ZN9rocsolver6v33100L6iota_nI19rocblas_complex_numIdEEEvPT_jS4_
                                        ; -- End function
	.set _ZN9rocsolver6v33100L6iota_nI19rocblas_complex_numIdEEEvPT_jS4_.num_vgpr, 5
	.set _ZN9rocsolver6v33100L6iota_nI19rocblas_complex_numIdEEEvPT_jS4_.num_agpr, 0
	.set _ZN9rocsolver6v33100L6iota_nI19rocblas_complex_numIdEEEvPT_jS4_.numbered_sgpr, 8
	.set _ZN9rocsolver6v33100L6iota_nI19rocblas_complex_numIdEEEvPT_jS4_.num_named_barrier, 0
	.set _ZN9rocsolver6v33100L6iota_nI19rocblas_complex_numIdEEEvPT_jS4_.private_seg_size, 0
	.set _ZN9rocsolver6v33100L6iota_nI19rocblas_complex_numIdEEEvPT_jS4_.uses_vcc, 1
	.set _ZN9rocsolver6v33100L6iota_nI19rocblas_complex_numIdEEEvPT_jS4_.uses_flat_scratch, 0
	.set _ZN9rocsolver6v33100L6iota_nI19rocblas_complex_numIdEEEvPT_jS4_.has_dyn_sized_stack, 0
	.set _ZN9rocsolver6v33100L6iota_nI19rocblas_complex_numIdEEEvPT_jS4_.has_recursion, 0
	.set _ZN9rocsolver6v33100L6iota_nI19rocblas_complex_numIdEEEvPT_jS4_.has_indirect_call, 0
	.section	.AMDGPU.csdata,"",@progbits
; Kernel info:
; codeLenInByte = 80
; TotalNumSgprs: 14
; NumVgprs: 5
; NumAgprs: 0
; TotalNumVgprs: 5
; ScratchSize: 0
; MemoryBound: 0
; FloatMode: 240
; IeeeMode: 1
; LDSByteSize: 0 bytes/workgroup (compile time only)
; SGPRBlocks: 1
; VGPRBlocks: 0
; NumSGPRsForWavesPerEU: 14
; NumVGPRsForWavesPerEU: 5
; AccumOffset: 8
; Occupancy: 8
; WaveLimiterHint : 0
; COMPUTE_PGM_RSRC2:SCRATCH_EN: 0
; COMPUTE_PGM_RSRC2:USER_SGPR: 2
; COMPUTE_PGM_RSRC2:TRAP_HANDLER: 0
; COMPUTE_PGM_RSRC2:TGID_X_EN: 1
; COMPUTE_PGM_RSRC2:TGID_Y_EN: 0
; COMPUTE_PGM_RSRC2:TGID_Z_EN: 0
; COMPUTE_PGM_RSRC2:TIDIG_COMP_CNT: 0
; COMPUTE_PGM_RSRC3_GFX90A:ACCUM_OFFSET: 1
; COMPUTE_PGM_RSRC3_GFX90A:TG_SPLIT: 0
	.section	.text._ZN9rocsolver6v33100L18geqr2_kernel_smallILi256E19rocblas_complex_numIdEidPKPS3_EEvT1_S7_T3_lS7_lPT2_lPT0_l,"axG",@progbits,_ZN9rocsolver6v33100L18geqr2_kernel_smallILi256E19rocblas_complex_numIdEidPKPS3_EEvT1_S7_T3_lS7_lPT2_lPT0_l,comdat
	.globl	_ZN9rocsolver6v33100L18geqr2_kernel_smallILi256E19rocblas_complex_numIdEidPKPS3_EEvT1_S7_T3_lS7_lPT2_lPT0_l ; -- Begin function _ZN9rocsolver6v33100L18geqr2_kernel_smallILi256E19rocblas_complex_numIdEidPKPS3_EEvT1_S7_T3_lS7_lPT2_lPT0_l
	.p2align	8
	.type	_ZN9rocsolver6v33100L18geqr2_kernel_smallILi256E19rocblas_complex_numIdEidPKPS3_EEvT1_S7_T3_lS7_lPT2_lPT0_l,@function
_ZN9rocsolver6v33100L18geqr2_kernel_smallILi256E19rocblas_complex_numIdEidPKPS3_EEvT1_S7_T3_lS7_lPT2_lPT0_l: ; @_ZN9rocsolver6v33100L18geqr2_kernel_smallILi256E19rocblas_complex_numIdEidPKPS3_EEvT1_S7_T3_lS7_lPT2_lPT0_l
; %bb.0:
	s_load_dwordx4 s[12:15], s[0:1], 0x8
	s_mov_b32 s4, s3
	s_ashr_i32 s5, s3, 31
	s_lshl_b64 s[2:3], s[4:5], 3
	v_and_b32_e32 v2, 0x7f, v0
	s_waitcnt lgkmcnt(0)
	s_add_u32 s2, s12, s2
	s_addc_u32 s3, s13, s3
	s_load_dwordx2 s[6:7], s[2:3], 0x0
	s_load_dwordx2 s[10:11], s[0:1], 0x0
	s_load_dword s28, s[0:1], 0x18
	s_lshl_b64 s[2:3], s[14:15], 4
	v_lshrrev_b32_e32 v3, 7, v0
	s_waitcnt lgkmcnt(0)
	s_add_u32 s20, s6, s2
	s_addc_u32 s21, s7, s3
	v_cmp_gt_i32_e64 s[8:9], s10, v2
	v_lshlrev_b32_e32 v18, 4, v2
	s_and_saveexec_b64 s[6:7], s[8:9]
	s_cbranch_execz .LBB31_6
; %bb.1:
	v_lshrrev_b32_e32 v1, 7, v0
	v_mul_lo_u32 v4, s10, v1
	v_lshlrev_b32_e32 v4, 4, v4
	v_add3_u32 v8, v4, v18, 0
	v_mad_u64_u32 v[4:5], s[2:3], s28, v1, v[2:3]
	v_cmp_gt_i32_e32 vcc, s11, v1
	s_lshl_b32 s18, s10, 5
	s_lshl_b32 s19, s28, 1
	s_mov_b64 s[12:13], 0
	v_mov_b32_e32 v5, v2
	s_branch .LBB31_3
.LBB31_2:                               ;   in Loop: Header=BB31_3 Depth=1
	s_or_b64 exec, exec, s[14:15]
	v_add_u32_e32 v5, 0x80, v5
	v_cmp_le_i32_e64 s[2:3], s10, v5
	v_add_u32_e32 v8, 0x800, v8
	s_or_b64 s[12:13], s[2:3], s[12:13]
	v_add_u32_e32 v4, 0x80, v4
	s_andn2_b64 exec, exec, s[12:13]
	s_cbranch_execz .LBB31_6
.LBB31_3:                               ; =>This Loop Header: Depth=1
                                        ;     Child Loop BB31_5 Depth 2
	s_and_saveexec_b64 s[14:15], vcc
	s_cbranch_execz .LBB31_2
; %bb.4:                                ;   in Loop: Header=BB31_3 Depth=1
	s_mov_b64 s[16:17], 0
	v_mov_b32_e32 v6, v4
	v_mov_b32_e32 v9, v8
	;; [unrolled: 1-line block ×3, first 2 shown]
.LBB31_5:                               ;   Parent Loop BB31_3 Depth=1
                                        ; =>  This Inner Loop Header: Depth=2
	v_ashrrev_i32_e32 v7, 31, v6
	v_lshl_add_u64 v[12:13], v[6:7], 4, s[20:21]
	flat_load_dwordx4 v[12:15], v[12:13]
	v_add_u32_e32 v10, 2, v10
	v_cmp_le_i32_e64 s[2:3], s11, v10
	v_add_u32_e32 v6, s19, v6
	s_or_b64 s[16:17], s[2:3], s[16:17]
	s_waitcnt vmcnt(0) lgkmcnt(0)
	ds_write2_b64 v9, v[12:13], v[14:15] offset1:1
	v_add_u32_e32 v9, s18, v9
	s_andn2_b64 exec, exec, s[16:17]
	s_cbranch_execnz .LBB31_5
	s_branch .LBB31_2
.LBB31_6:
	s_or_b64 exec, exec, s[6:7]
	s_min_i32 s29, s11, s10
	s_cmp_lt_i32 s29, 1
	s_waitcnt lgkmcnt(0)
	s_barrier
	s_cbranch_scc1 .LBB31_44
; %bb.7:
	s_load_dwordx8 s[12:19], s[0:1], 0x28
	v_mbcnt_lo_u32_b32 v1, -1, 0
	v_mbcnt_hi_u32_b32 v4, -1, v1
	v_and_b32_e32 v5, 63, v4
	v_cmp_ne_u32_e32 vcc, 63, v5
	s_waitcnt lgkmcnt(0)
	s_mul_i32 s1, s14, s5
	s_mul_hi_u32 s2, s14, s4
	s_mul_i32 s3, s15, s4
	s_add_i32 s1, s2, s1
	s_mul_i32 s0, s14, s4
	s_add_i32 s1, s1, s3
	s_lshl_b64 s[0:1], s[0:1], 3
	s_mul_i32 s5, s18, s5
	s_add_u32 s30, s12, s0
	s_mul_hi_u32 s0, s18, s4
	s_addc_u32 s31, s13, s1
	s_add_i32 s0, s0, s5
	s_mul_i32 s1, s19, s4
	s_add_i32 s1, s0, s1
	s_mul_i32 s0, s18, s4
	s_lshl_b64 s[0:1], s[0:1], 4
	v_addc_co_u32_e32 v1, vcc, 0, v4, vcc
	s_add_u32 s33, s16, s0
	s_mul_i32 s0, s11, s10
	v_cmp_gt_u32_e32 vcc, 62, v5
	s_addc_u32 s34, s17, s1
	s_lshl_b32 s0, s0, 4
	v_cndmask_b32_e64 v6, 0, 2, vcc
	v_cmp_gt_u32_e32 vcc, 60, v5
	s_add_i32 s35, s0, 0
	s_lshl_b32 s0, s11, 4
	v_add_lshl_u32 v19, v6, v4, 2
	v_cndmask_b32_e64 v6, 0, 4, vcc
	v_cmp_gt_u32_e32 vcc, 56, v5
	s_add_i32 s36, s35, s0
	v_add_lshl_u32 v20, v6, v4, 2
	v_cndmask_b32_e64 v6, 0, 8, vcc
	v_cmp_gt_u32_e32 vcc, 48, v5
	s_cmp_eq_u64 s[12:13], 0
	s_cselect_b64 s[14:15], -1, 0
	v_cndmask_b32_e64 v5, 0, 16, vcc
	v_add_lshl_u32 v22, v5, v4, 2
	v_mov_b32_e32 v5, 0x80
	s_cmp_lg_u64 s[12:13], 0
	v_add_lshl_u32 v21, v6, v4, 2
	v_lshl_or_b32 v23, v4, 2, v5
	v_and_b32_e32 v4, 63, v0
	s_cselect_b64 s[12:13], -1, 0
	s_lshl_b32 s37, s10, 4
	v_mul_lo_u32 v6, s10, v0
	s_mov_b32 s1, 0
	v_cmp_eq_u32_e64 s[2:3], 0, v4
	v_lshrrev_b32_e32 v4, 2, v0
	v_lshlrev_b32_e32 v5, 4, v0
	v_add_u32_e32 v6, s10, v6
	s_add_i32 s0, s37, 0
	s_mov_b32 s16, 0
	v_lshlrev_b32_e32 v1, 2, v1
	v_cmp_eq_u32_e64 s[4:5], 0, v0
	v_add3_u32 v24, v5, 0, 16
	s_add_i32 s38, s37, 16
	v_lshl_add_u32 v25, v6, 4, 0
	s_lshl_b32 s39, s10, 12
	v_add_u32_e32 v26, s0, v5
	v_add_u32_e32 v27, s36, v4
	s_brev_b32 s17, 8
	v_mov_b32_e32 v28, 0x260
	v_mov_b32_e32 v4, 0
	;; [unrolled: 1-line block ×4, first 2 shown]
	s_mov_b32 s40, 0
	s_mov_b32 s41, s11
	;; [unrolled: 1-line block ×4, first 2 shown]
	s_branch .LBB31_9
.LBB31_8:                               ;   in Loop: Header=BB31_9 Depth=1
	s_or_b64 exec, exec, s[6:7]
	s_add_i32 s41, s41, -1
	s_add_i32 s0, s0, 1
	s_add_i32 s42, s42, -1
	s_add_i32 s40, s40, s38
	v_add_u32_e32 v24, s38, v24
	v_add_u32_e32 v25, s38, v25
	s_cmp_eq_u32 s0, s29
	v_add_u32_e32 v26, s38, v26
	s_waitcnt lgkmcnt(0)
	s_barrier
	s_cbranch_scc1 .LBB31_44
.LBB31_9:                               ; =>This Loop Header: Depth=1
                                        ;     Child Loop BB31_11 Depth 2
                                        ;     Child Loop BB31_28 Depth 2
	;; [unrolled: 1-line block ×3, first 2 shown]
                                        ;       Child Loop BB31_35 Depth 3
                                        ;     Child Loop BB31_39 Depth 2
                                        ;       Child Loop BB31_41 Depth 3
	s_sub_i32 s43, s10, s0
	s_add_i32 s45, s43, -1
	v_cmp_gt_i32_e64 s[6:7], s45, v0
	v_mov_b64_e32 v[6:7], 0
	v_mov_b64_e32 v[8:9], 0
	s_and_saveexec_b64 s[18:19], s[6:7]
	s_cbranch_execz .LBB31_13
; %bb.10:                               ;   in Loop: Header=BB31_9 Depth=1
	v_mov_b64_e32 v[6:7], 0
	s_mov_b64 s[22:23], 0
	v_mov_b32_e32 v5, v24
	v_mov_b32_e32 v10, v0
	v_mov_b64_e32 v[8:9], 0
.LBB31_11:                              ;   Parent Loop BB31_9 Depth=1
                                        ; =>  This Inner Loop Header: Depth=2
	ds_read2_b64 v[12:15], v5 offset1:1
	v_add_u32_e32 v10, 0x100, v10
	v_cmp_le_i32_e32 vcc, s45, v10
	v_add_u32_e32 v5, 0x1000, v5
	s_or_b64 s[22:23], vcc, s[22:23]
	s_waitcnt lgkmcnt(0)
	v_mul_f64 v[16:17], v[14:15], v[14:15]
	v_mul_f64 v[32:33], v[12:13], v[14:15]
	v_fmac_f64_e32 v[16:17], v[12:13], v[12:13]
	v_fma_f64 v[12:13], v[12:13], v[14:15], -v[32:33]
	v_add_f64 v[8:9], v[8:9], v[16:17]
	v_add_f64 v[6:7], v[6:7], v[12:13]
	s_andn2_b64 exec, exec, s[22:23]
	s_cbranch_execnz .LBB31_11
; %bb.12:                               ;   in Loop: Header=BB31_9 Depth=1
	s_or_b64 exec, exec, s[22:23]
.LBB31_13:                              ;   in Loop: Header=BB31_9 Depth=1
	s_or_b64 exec, exec, s[18:19]
	ds_bpermute_b32 v10, v1, v8
	ds_bpermute_b32 v11, v1, v9
	;; [unrolled: 1-line block ×4, first 2 shown]
	s_waitcnt lgkmcnt(2)
	v_add_f64 v[8:9], v[8:9], v[10:11]
	ds_bpermute_b32 v10, v19, v8
	s_waitcnt lgkmcnt(1)
	v_add_f64 v[6:7], v[6:7], v[12:13]
	ds_bpermute_b32 v11, v19, v9
	ds_bpermute_b32 v12, v19, v6
	ds_bpermute_b32 v13, v19, v7
	s_waitcnt lgkmcnt(2)
	v_add_f64 v[8:9], v[8:9], v[10:11]
	ds_bpermute_b32 v10, v20, v8
	s_waitcnt lgkmcnt(1)
	v_add_f64 v[6:7], v[6:7], v[12:13]
	ds_bpermute_b32 v11, v20, v9
	ds_bpermute_b32 v12, v20, v6
	ds_bpermute_b32 v13, v20, v7
	;; [unrolled: 8-line block ×4, first 2 shown]
	s_waitcnt lgkmcnt(2)
	v_add_f64 v[14:15], v[8:9], v[10:11]
	s_waitcnt lgkmcnt(0)
	v_add_f64 v[8:9], v[6:7], v[12:13]
	ds_bpermute_b32 v6, v23, v14
	ds_bpermute_b32 v7, v23, v15
	;; [unrolled: 1-line block ×4, first 2 shown]
	s_waitcnt lgkmcnt(2)
	v_add_f64 v[6:7], v[14:15], v[6:7]
	s_and_saveexec_b64 s[18:19], s[2:3]
	s_cbranch_execz .LBB31_15
; %bb.14:                               ;   in Loop: Header=BB31_9 Depth=1
	s_waitcnt lgkmcnt(0)
	v_add_f64 v[8:9], v[8:9], v[10:11]
	ds_write2_b64 v27, v[6:7], v[8:9] offset0:2 offset1:3
.LBB31_15:                              ;   in Loop: Header=BB31_9 Depth=1
	s_or_b64 exec, exec, s[18:19]
	s_lshl_b32 s18, s0, 4
	s_add_i32 s44, s18, 0
	s_mul_i32 s18, s0, s10
	s_lshl_b32 s18, s18, 4
	s_add_i32 s44, s44, s18
	s_waitcnt lgkmcnt(0)
	s_barrier
	s_and_saveexec_b64 s[18:19], s[4:5]
	s_cbranch_execz .LBB31_26
; %bb.16:                               ;   in Loop: Header=BB31_9 Depth=1
	v_mov_b32_e32 v5, s36
	ds_read2_b64 v[14:17], v5 offset0:4 offset1:6
	v_mov_b32_e32 v8, s44
	ds_read_b64 v[10:11], v8 offset:8
	ds_read_b64 v[8:9], v5 offset:64
	s_mov_b64 s[26:27], 0
	s_mov_b64 s[22:23], 0
	s_waitcnt lgkmcnt(2)
	v_add_f64 v[6:7], v[6:7], v[14:15]
	v_add_f64 v[6:7], v[6:7], v[16:17]
	s_waitcnt lgkmcnt(1)
	v_mul_f64 v[14:15], v[10:11], v[10:11]
	s_waitcnt lgkmcnt(0)
	v_add_f64 v[16:17], v[6:7], v[8:9]
	v_max_f64 v[6:7], v[16:17], v[14:15]
	v_cmp_nlt_f64_e32 vcc, 0, v[6:7]
	s_and_saveexec_b64 s[24:25], vcc
	s_xor_b64 s[24:25], exec, s[24:25]
                                        ; implicit-def: $vgpr6_vgpr7
	s_cbranch_execz .LBB31_21
; %bb.17:                               ;   in Loop: Header=BB31_9 Depth=1
	s_mov_b32 s22, s1
	s_mov_b32 s23, s1
	;; [unrolled: 1-line block ×4, first 2 shown]
	v_mov_b32_e32 v5, s36
	v_mov_b64_e32 v[6:7], s[22:23]
	v_mov_b64_e32 v[8:9], s[46:47]
	s_and_b64 vcc, exec, s[12:13]
	ds_write2_b64 v5, v[6:7], v[8:9] offset1:1
	s_cbranch_vccz .LBB31_19
; %bb.18:                               ;   in Loop: Header=BB31_9 Depth=1
	v_mov_b32_e32 v5, s44
	ds_read_b64 v[6:7], v5
	s_mov_b64 s[22:23], -1
	s_branch .LBB31_20
.LBB31_19:                              ;   in Loop: Header=BB31_9 Depth=1
	s_mov_b64 s[22:23], 0
                                        ; implicit-def: $vgpr6_vgpr7
.LBB31_20:                              ;   in Loop: Header=BB31_9 Depth=1
	s_and_b64 s[22:23], s[22:23], exec
                                        ; implicit-def: $vgpr14_vgpr15
                                        ; implicit-def: $vgpr16_vgpr17
                                        ; implicit-def: $vgpr10_vgpr11
.LBB31_21:                              ;   in Loop: Header=BB31_9 Depth=1
	s_or_saveexec_b64 s[24:25], s[24:25]
	v_mov_b64_e32 v[8:9], 1.0
	v_mov_b64_e32 v[12:13], 0
	s_xor_b64 exec, exec, s[24:25]
	s_cbranch_execnz .LBB31_42
; %bb.22:                               ;   in Loop: Header=BB31_9 Depth=1
	s_or_b64 exec, exec, s[24:25]
	s_and_saveexec_b64 s[24:25], s[22:23]
	s_cbranch_execnz .LBB31_43
.LBB31_23:                              ;   in Loop: Header=BB31_9 Depth=1
	s_or_b64 exec, exec, s[24:25]
	v_mov_b64_e32 v[10:11], 0
	s_and_saveexec_b64 s[22:23], s[26:27]
	s_cbranch_execz .LBB31_25
.LBB31_24:                              ;   in Loop: Header=BB31_9 Depth=1
	v_mov_b32_e32 v5, v4
	v_mov_b32_e32 v10, s44
	s_waitcnt lgkmcnt(0)
	ds_write2_b64 v10, v[6:7], v[4:5] offset1:1
	v_mov_b32_e32 v5, s36
	ds_read_b64 v[10:11], v5 offset:8
.LBB31_25:                              ;   in Loop: Header=BB31_9 Depth=1
	s_or_b64 exec, exec, s[22:23]
	v_mov_b32_e32 v5, s36
	ds_read2_b64 v[14:17], v5 offset1:1
	s_lshl_b64 s[22:23], s[0:1], 4
	s_add_u32 s22, s33, s22
	s_addc_u32 s23, s34, s23
	s_waitcnt lgkmcnt(1)
	v_xor_b32_e32 v11, 0x80000000, v11
	ds_write_b64 v5, v[12:13] offset:24
	s_waitcnt lgkmcnt(1)
	global_store_dwordx4 v4, v[14:17], s[22:23]
	ds_write2_b64 v5, v[10:11], v[8:9] offset0:1 offset1:2
.LBB31_26:                              ;   in Loop: Header=BB31_9 Depth=1
	s_or_b64 exec, exec, s[18:19]
	s_waitcnt lgkmcnt(0)
	s_barrier
	s_and_saveexec_b64 s[18:19], s[6:7]
	s_cbranch_execz .LBB31_29
; %bb.27:                               ;   in Loop: Header=BB31_9 Depth=1
	s_mov_b32 s22, 0
	s_mov_b64 s[6:7], 0
	v_mov_b32_e32 v5, v0
.LBB31_28:                              ;   Parent Loop BB31_9 Depth=1
                                        ; =>  This Inner Loop Header: Depth=2
	v_mov_b32_e32 v6, s36
	v_add_u32_e32 v16, s22, v24
	ds_read2_b64 v[6:9], v6 offset0:2 offset1:3
	ds_read2_b64 v[10:13], v16 offset1:1
	v_add_u32_e32 v5, 0x100, v5
	s_addk_i32 s22, 0x1000
	v_cmp_le_i32_e32 vcc, s45, v5
	s_or_b64 s[6:7], vcc, s[6:7]
	s_waitcnt lgkmcnt(0)
	v_mul_f64 v[14:15], v[8:9], v[12:13]
	v_mul_f64 v[12:13], v[6:7], v[12:13]
	v_fma_f64 v[6:7], v[6:7], v[10:11], -v[14:15]
	v_fmac_f64_e32 v[12:13], v[8:9], v[10:11]
	ds_write2_b64 v16, v[6:7], v[12:13] offset1:1
	s_andn2_b64 exec, exec, s[6:7]
	s_cbranch_execnz .LBB31_28
.LBB31_29:                              ;   in Loop: Header=BB31_9 Depth=1
	s_or_b64 exec, exec, s[18:19]
	s_not_b32 s6, s0
	s_add_i32 s24, s11, s6
	v_cmp_gt_i32_e32 vcc, s24, v0
	s_waitcnt lgkmcnt(0)
	s_barrier
	s_and_saveexec_b64 s[6:7], vcc
	s_cbranch_execz .LBB31_36
; %bb.30:                               ;   in Loop: Header=BB31_9 Depth=1
	s_cmp_gt_i32 s43, 0
	s_mov_b64 s[18:19], 0
	s_cselect_b64 s[22:23], -1, 0
	v_mov_b32_e32 v5, v25
	v_mov_b32_e32 v10, v0
	s_branch .LBB31_33
.LBB31_31:                              ;   in Loop: Header=BB31_33 Depth=2
	v_mov_b64_e32 v[8:9], 0
.LBB31_32:                              ;   in Loop: Header=BB31_33 Depth=2
	v_mov_b32_e32 v11, s36
	ds_read2_b64 v[12:15], v11 offset1:1
	v_lshl_add_u32 v11, v10, 4, s35
	v_add_u32_e32 v10, 0x100, v10
	v_cmp_le_i32_e32 vcc, s24, v10
	s_or_b64 s[18:19], vcc, s[18:19]
	s_waitcnt lgkmcnt(0)
	v_mul_f64 v[16:17], v[6:7], v[14:15]
	v_mul_f64 v[14:15], v[8:9], v[14:15]
	v_fma_f64 v[8:9], v[8:9], v[12:13], -v[16:17]
	v_fmac_f64_e32 v[14:15], v[6:7], v[12:13]
	v_add_u32_e32 v5, s39, v5
	ds_write2_b64 v11, v[8:9], v[14:15] offset1:1
	s_andn2_b64 exec, exec, s[18:19]
	s_cbranch_execz .LBB31_36
.LBB31_33:                              ;   Parent Loop BB31_9 Depth=1
                                        ; =>  This Loop Header: Depth=2
                                        ;       Child Loop BB31_35 Depth 3
	v_mov_b64_e32 v[6:7], 0
	s_andn2_b64 vcc, exec, s[22:23]
	s_cbranch_vccnz .LBB31_31
; %bb.34:                               ;   in Loop: Header=BB31_33 Depth=2
	s_mov_b32 s25, s40
	s_mov_b32 s26, s42
	v_mov_b32_e32 v11, v5
	v_mov_b64_e32 v[8:9], 0
.LBB31_35:                              ;   Parent Loop BB31_9 Depth=1
                                        ;     Parent Loop BB31_33 Depth=2
                                        ; =>    This Inner Loop Header: Depth=3
	v_mov_b32_e32 v16, s25
	ds_read2_b64 v[12:15], v11 offset1:1
	ds_read2_b64 v[32:35], v16 offset1:1
	s_add_i32 s26, s26, -1
	s_add_i32 s25, s25, 16
	v_add_u32_e32 v11, 16, v11
	s_cmp_eq_u32 s26, 0
	s_waitcnt lgkmcnt(0)
	v_mul_f64 v[16:17], v[34:35], v[14:15]
	v_mul_f64 v[34:35], v[34:35], v[12:13]
	v_fmac_f64_e32 v[16:17], v[32:33], v[12:13]
	v_fma_f64 v[12:13], v[32:33], v[14:15], -v[34:35]
	v_add_f64 v[8:9], v[8:9], v[16:17]
	v_add_f64 v[6:7], v[6:7], v[12:13]
	s_cbranch_scc0 .LBB31_35
	s_branch .LBB31_32
.LBB31_36:                              ;   in Loop: Header=BB31_9 Depth=1
	s_or_b64 exec, exec, s[6:7]
	v_cmp_gt_i32_e32 vcc, s43, v0
	s_waitcnt lgkmcnt(0)
	s_barrier
	s_and_saveexec_b64 s[6:7], vcc
	s_cbranch_execz .LBB31_8
; %bb.37:                               ;   in Loop: Header=BB31_9 Depth=1
	s_cmp_gt_i32 s24, 0
	s_mov_b64 s[18:19], 0
	s_cselect_b64 s[22:23], -1, 0
	v_mov_b32_e32 v5, v26
	v_mov_b32_e32 v6, v0
	s_branch .LBB31_39
.LBB31_38:                              ;   in Loop: Header=BB31_39 Depth=2
	v_add_u32_e32 v6, 0x100, v6
	v_cmp_le_i32_e32 vcc, s43, v6
	s_or_b64 s[18:19], vcc, s[18:19]
	v_add_u32_e32 v5, 0x1000, v5
	s_andn2_b64 exec, exec, s[18:19]
	s_cbranch_execz .LBB31_8
.LBB31_39:                              ;   Parent Loop BB31_9 Depth=1
                                        ; =>  This Loop Header: Depth=2
                                        ;       Child Loop BB31_41 Depth 3
	s_andn2_b64 vcc, exec, s[22:23]
	s_cbranch_vccnz .LBB31_38
; %bb.40:                               ;   in Loop: Header=BB31_39 Depth=2
	v_lshl_add_u32 v7, v6, 4, s44
	s_mov_b32 s24, 1
	s_mov_b32 s25, s35
	v_mov_b32_e32 v8, v5
.LBB31_41:                              ;   Parent Loop BB31_9 Depth=1
                                        ;     Parent Loop BB31_39 Depth=2
                                        ; =>    This Inner Loop Header: Depth=3
	v_mov_b32_e32 v9, s25
	ds_read2_b64 v[10:13], v7 offset1:1
	ds_read2_b64 v[14:17], v8 offset1:1
	;; [unrolled: 1-line block ×3, first 2 shown]
	s_add_i32 s24, s24, 1
	s_add_i32 s25, s25, 16
	s_cmp_eq_u32 s41, s24
	s_waitcnt lgkmcnt(0)
	v_mul_f64 v[36:37], v[34:35], v[12:13]
	v_mul_f64 v[12:13], v[32:33], v[12:13]
	v_fma_f64 v[32:33], v[32:33], v[10:11], -v[36:37]
	v_fmac_f64_e32 v[12:13], v[34:35], v[10:11]
	v_add_f64 v[10:11], v[14:15], -v[32:33]
	v_add_f64 v[12:13], v[16:17], -v[12:13]
	ds_write2_b64 v8, v[10:11], v[12:13] offset1:1
	v_add_u32_e32 v8, s37, v8
	s_cbranch_scc0 .LBB31_41
	s_branch .LBB31_38
.LBB31_42:                              ;   in Loop: Header=BB31_9 Depth=1
	v_mov_b32_e32 v5, s44
	ds_read_b64 v[12:13], v5
	s_andn2_b64 s[22:23], s[22:23], exec
	s_and_b64 s[46:47], s[12:13], exec
	s_or_b64 s[22:23], s[22:23], s[46:47]
	s_waitcnt lgkmcnt(0)
	v_fma_f64 v[6:7], v[12:13], v[12:13], v[14:15]
	v_add_f64 v[6:7], v[16:17], v[6:7]
	v_cmp_gt_f64_e32 vcc, s[16:17], v[6:7]
	s_nop 1
	v_cndmask_b32_e32 v5, 0, v29, vcc
	v_ldexp_f64 v[6:7], v[6:7], v5
	v_rsq_f64_e32 v[8:9], v[6:7]
	v_cndmask_b32_e32 v5, 0, v30, vcc
	v_cmp_class_f64_e32 vcc, v[6:7], v28
	v_mul_f64 v[16:17], v[6:7], v[8:9]
	v_mul_f64 v[8:9], v[8:9], 0.5
	v_fma_f64 v[32:33], -v[8:9], v[16:17], 0.5
	v_fmac_f64_e32 v[16:17], v[16:17], v[32:33]
	v_fmac_f64_e32 v[8:9], v[8:9], v[32:33]
	v_fma_f64 v[32:33], -v[16:17], v[16:17], v[6:7]
	v_fmac_f64_e32 v[16:17], v[32:33], v[8:9]
	v_fma_f64 v[32:33], -v[16:17], v[16:17], v[6:7]
	v_fmac_f64_e32 v[16:17], v[32:33], v[8:9]
	v_ldexp_f64 v[8:9], v[16:17], v5
	v_cndmask_b32_e32 v5, v9, v7, vcc
	v_cndmask_b32_e32 v6, v8, v6, vcc
	v_xor_b32_e32 v7, 0x80000000, v5
	v_cmp_le_f64_e32 vcc, 0, v[12:13]
	s_nop 1
	v_cndmask_b32_e32 v7, v5, v7, vcc
	v_add_f64 v[8:9], v[12:13], -v[6:7]
	v_fmac_f64_e32 v[14:15], v[8:9], v[8:9]
	v_div_scale_f64 v[16:17], s[26:27], v[14:15], v[14:15], v[8:9]
	v_rcp_f64_e32 v[32:33], v[16:17]
	v_div_scale_f64 v[34:35], vcc, v[8:9], v[14:15], v[8:9]
	v_mov_b32_e32 v5, s36
	v_fma_f64 v[36:37], -v[16:17], v[32:33], 1.0
	v_fmac_f64_e32 v[32:33], v[32:33], v[36:37]
	v_fma_f64 v[36:37], -v[16:17], v[32:33], 1.0
	v_fmac_f64_e32 v[32:33], v[32:33], v[36:37]
	v_mul_f64 v[36:37], v[34:35], v[32:33]
	v_fma_f64 v[16:17], -v[16:17], v[36:37], v[34:35]
	v_div_scale_f64 v[34:35], s[26:27], v[14:15], v[14:15], -v[10:11]
	v_rcp_f64_e32 v[38:39], v[34:35]
	v_div_fmas_f64 v[16:17], v[16:17], v[32:33], v[36:37]
	v_div_fixup_f64 v[8:9], v[16:17], v[14:15], v[8:9]
	v_fma_f64 v[16:17], -v[34:35], v[38:39], 1.0
	v_fmac_f64_e32 v[38:39], v[38:39], v[16:17]
	v_fma_f64 v[16:17], -v[34:35], v[38:39], 1.0
	v_fmac_f64_e32 v[38:39], v[38:39], v[16:17]
	v_div_scale_f64 v[16:17], vcc, -v[10:11], v[14:15], -v[10:11]
	v_mul_f64 v[32:33], v[16:17], v[38:39]
	v_fma_f64 v[16:17], -v[34:35], v[32:33], v[16:17]
	v_add_f64 v[34:35], v[6:7], -v[12:13]
	v_div_scale_f64 v[36:37], s[26:27], v[6:7], v[6:7], v[34:35]
	v_rcp_f64_e32 v[40:41], v[36:37]
	v_div_fmas_f64 v[12:13], v[16:17], v[38:39], v[32:33]
	v_div_fixup_f64 v[12:13], v[12:13], v[14:15], -v[10:11]
	v_div_scale_f64 v[32:33], s[26:27], v[6:7], v[6:7], -v[10:11]
	v_fma_f64 v[14:15], -v[36:37], v[40:41], 1.0
	v_fmac_f64_e32 v[40:41], v[40:41], v[14:15]
	v_fma_f64 v[14:15], -v[36:37], v[40:41], 1.0
	v_fmac_f64_e32 v[40:41], v[40:41], v[14:15]
	v_div_scale_f64 v[14:15], vcc, v[34:35], v[6:7], v[34:35]
	v_mul_f64 v[16:17], v[14:15], v[40:41]
	v_fma_f64 v[14:15], -v[36:37], v[16:17], v[14:15]
	v_rcp_f64_e32 v[36:37], v[32:33]
	s_nop 0
	v_div_fmas_f64 v[14:15], v[14:15], v[40:41], v[16:17]
	v_div_fixup_f64 v[14:15], v[14:15], v[6:7], v[34:35]
	s_and_b64 s[26:27], s[14:15], exec
	v_fma_f64 v[16:17], -v[32:33], v[36:37], 1.0
	v_fmac_f64_e32 v[36:37], v[36:37], v[16:17]
	v_fma_f64 v[16:17], -v[32:33], v[36:37], 1.0
	v_fmac_f64_e32 v[36:37], v[36:37], v[16:17]
	v_div_scale_f64 v[16:17], vcc, -v[10:11], v[6:7], -v[10:11]
	v_mul_f64 v[34:35], v[16:17], v[36:37]
	v_fma_f64 v[16:17], -v[32:33], v[34:35], v[16:17]
	s_nop 1
	v_div_fmas_f64 v[16:17], v[16:17], v[36:37], v[34:35]
	v_div_fixup_f64 v[10:11], v[16:17], v[6:7], -v[10:11]
	ds_write2_b64 v5, v[14:15], v[10:11] offset1:1
	s_or_b64 exec, exec, s[24:25]
	s_and_saveexec_b64 s[24:25], s[22:23]
	s_cbranch_execz .LBB31_23
.LBB31_43:                              ;   in Loop: Header=BB31_9 Depth=1
	s_lshl_b64 s[22:23], s[0:1], 3
	s_add_u32 s22, s30, s22
	s_addc_u32 s23, s31, s23
	s_waitcnt lgkmcnt(0)
	global_store_dwordx2 v4, v[6:7], s[22:23]
	v_mov_b64_e32 v[6:7], 1.0
	s_or_b64 s[26:27], s[26:27], exec
	s_or_b64 exec, exec, s[24:25]
	v_mov_b64_e32 v[10:11], 0
	s_and_saveexec_b64 s[22:23], s[26:27]
	s_cbranch_execnz .LBB31_24
	s_branch .LBB31_25
.LBB31_44:
	s_and_saveexec_b64 s[0:1], s[8:9]
	s_cbranch_execz .LBB31_50
; %bb.45:
	v_mad_u64_u32 v[0:1], s[0:1], s28, v3, v[2:3]
	v_mul_lo_u32 v1, s10, v3
	v_lshlrev_b32_e32 v1, 4, v1
	v_cmp_gt_i32_e32 vcc, s11, v3
	s_lshl_b32 s8, s28, 1
	v_add3_u32 v1, v1, v18, 0
	s_lshl_b32 s9, s10, 5
	s_mov_b64 s[2:3], 0
	s_branch .LBB31_47
.LBB31_46:                              ;   in Loop: Header=BB31_47 Depth=1
	s_or_b64 exec, exec, s[4:5]
	v_add_u32_e32 v2, 0x80, v2
	v_cmp_le_i32_e64 s[0:1], s10, v2
	v_add_u32_e32 v0, 0x80, v0
	s_or_b64 s[2:3], s[0:1], s[2:3]
	v_add_u32_e32 v1, 0x800, v1
	s_andn2_b64 exec, exec, s[2:3]
	s_cbranch_execz .LBB31_50
.LBB31_47:                              ; =>This Loop Header: Depth=1
                                        ;     Child Loop BB31_49 Depth 2
	s_and_saveexec_b64 s[4:5], vcc
	s_cbranch_execz .LBB31_46
; %bb.48:                               ;   in Loop: Header=BB31_47 Depth=1
	s_mov_b64 s[6:7], 0
	v_mov_b32_e32 v6, v1
	v_mov_b32_e32 v4, v0
	;; [unrolled: 1-line block ×3, first 2 shown]
.LBB31_49:                              ;   Parent Loop BB31_47 Depth=1
                                        ; =>  This Inner Loop Header: Depth=2
	ds_read2_b64 v[8:11], v6 offset1:1
	v_add_u32_e32 v7, 2, v7
	v_ashrrev_i32_e32 v5, 31, v4
	v_cmp_le_i32_e64 s[0:1], s11, v7
	v_add_u32_e32 v6, s9, v6
	v_lshl_add_u64 v[12:13], v[4:5], 4, s[20:21]
	v_add_u32_e32 v4, s8, v4
	s_or_b64 s[6:7], s[0:1], s[6:7]
	s_waitcnt lgkmcnt(0)
	flat_store_dwordx4 v[12:13], v[8:11]
	s_andn2_b64 exec, exec, s[6:7]
	s_cbranch_execnz .LBB31_49
	s_branch .LBB31_46
.LBB31_50:
	s_endpgm
	.section	.rodata,"a",@progbits
	.p2align	6, 0x0
	.amdhsa_kernel _ZN9rocsolver6v33100L18geqr2_kernel_smallILi256E19rocblas_complex_numIdEidPKPS3_EEvT1_S7_T3_lS7_lPT2_lPT0_l
		.amdhsa_group_segment_fixed_size 0
		.amdhsa_private_segment_fixed_size 0
		.amdhsa_kernarg_size 72
		.amdhsa_user_sgpr_count 2
		.amdhsa_user_sgpr_dispatch_ptr 0
		.amdhsa_user_sgpr_queue_ptr 0
		.amdhsa_user_sgpr_kernarg_segment_ptr 1
		.amdhsa_user_sgpr_dispatch_id 0
		.amdhsa_user_sgpr_kernarg_preload_length 0
		.amdhsa_user_sgpr_kernarg_preload_offset 0
		.amdhsa_user_sgpr_private_segment_size 0
		.amdhsa_uses_dynamic_stack 0
		.amdhsa_enable_private_segment 0
		.amdhsa_system_sgpr_workgroup_id_x 1
		.amdhsa_system_sgpr_workgroup_id_y 0
		.amdhsa_system_sgpr_workgroup_id_z 1
		.amdhsa_system_sgpr_workgroup_info 0
		.amdhsa_system_vgpr_workitem_id 0
		.amdhsa_next_free_vgpr 42
		.amdhsa_next_free_sgpr 48
		.amdhsa_accum_offset 44
		.amdhsa_reserve_vcc 1
		.amdhsa_float_round_mode_32 0
		.amdhsa_float_round_mode_16_64 0
		.amdhsa_float_denorm_mode_32 3
		.amdhsa_float_denorm_mode_16_64 3
		.amdhsa_dx10_clamp 1
		.amdhsa_ieee_mode 1
		.amdhsa_fp16_overflow 0
		.amdhsa_tg_split 0
		.amdhsa_exception_fp_ieee_invalid_op 0
		.amdhsa_exception_fp_denorm_src 0
		.amdhsa_exception_fp_ieee_div_zero 0
		.amdhsa_exception_fp_ieee_overflow 0
		.amdhsa_exception_fp_ieee_underflow 0
		.amdhsa_exception_fp_ieee_inexact 0
		.amdhsa_exception_int_div_zero 0
	.end_amdhsa_kernel
	.section	.text._ZN9rocsolver6v33100L18geqr2_kernel_smallILi256E19rocblas_complex_numIdEidPKPS3_EEvT1_S7_T3_lS7_lPT2_lPT0_l,"axG",@progbits,_ZN9rocsolver6v33100L18geqr2_kernel_smallILi256E19rocblas_complex_numIdEidPKPS3_EEvT1_S7_T3_lS7_lPT2_lPT0_l,comdat
.Lfunc_end31:
	.size	_ZN9rocsolver6v33100L18geqr2_kernel_smallILi256E19rocblas_complex_numIdEidPKPS3_EEvT1_S7_T3_lS7_lPT2_lPT0_l, .Lfunc_end31-_ZN9rocsolver6v33100L18geqr2_kernel_smallILi256E19rocblas_complex_numIdEidPKPS3_EEvT1_S7_T3_lS7_lPT2_lPT0_l
                                        ; -- End function
	.set _ZN9rocsolver6v33100L18geqr2_kernel_smallILi256E19rocblas_complex_numIdEidPKPS3_EEvT1_S7_T3_lS7_lPT2_lPT0_l.num_vgpr, 42
	.set _ZN9rocsolver6v33100L18geqr2_kernel_smallILi256E19rocblas_complex_numIdEidPKPS3_EEvT1_S7_T3_lS7_lPT2_lPT0_l.num_agpr, 0
	.set _ZN9rocsolver6v33100L18geqr2_kernel_smallILi256E19rocblas_complex_numIdEidPKPS3_EEvT1_S7_T3_lS7_lPT2_lPT0_l.numbered_sgpr, 48
	.set _ZN9rocsolver6v33100L18geqr2_kernel_smallILi256E19rocblas_complex_numIdEidPKPS3_EEvT1_S7_T3_lS7_lPT2_lPT0_l.num_named_barrier, 0
	.set _ZN9rocsolver6v33100L18geqr2_kernel_smallILi256E19rocblas_complex_numIdEidPKPS3_EEvT1_S7_T3_lS7_lPT2_lPT0_l.private_seg_size, 0
	.set _ZN9rocsolver6v33100L18geqr2_kernel_smallILi256E19rocblas_complex_numIdEidPKPS3_EEvT1_S7_T3_lS7_lPT2_lPT0_l.uses_vcc, 1
	.set _ZN9rocsolver6v33100L18geqr2_kernel_smallILi256E19rocblas_complex_numIdEidPKPS3_EEvT1_S7_T3_lS7_lPT2_lPT0_l.uses_flat_scratch, 0
	.set _ZN9rocsolver6v33100L18geqr2_kernel_smallILi256E19rocblas_complex_numIdEidPKPS3_EEvT1_S7_T3_lS7_lPT2_lPT0_l.has_dyn_sized_stack, 0
	.set _ZN9rocsolver6v33100L18geqr2_kernel_smallILi256E19rocblas_complex_numIdEidPKPS3_EEvT1_S7_T3_lS7_lPT2_lPT0_l.has_recursion, 0
	.set _ZN9rocsolver6v33100L18geqr2_kernel_smallILi256E19rocblas_complex_numIdEidPKPS3_EEvT1_S7_T3_lS7_lPT2_lPT0_l.has_indirect_call, 0
	.section	.AMDGPU.csdata,"",@progbits
; Kernel info:
; codeLenInByte = 3016
; TotalNumSgprs: 54
; NumVgprs: 42
; NumAgprs: 0
; TotalNumVgprs: 42
; ScratchSize: 0
; MemoryBound: 0
; FloatMode: 240
; IeeeMode: 1
; LDSByteSize: 0 bytes/workgroup (compile time only)
; SGPRBlocks: 6
; VGPRBlocks: 5
; NumSGPRsForWavesPerEU: 54
; NumVGPRsForWavesPerEU: 42
; AccumOffset: 44
; Occupancy: 8
; WaveLimiterHint : 1
; COMPUTE_PGM_RSRC2:SCRATCH_EN: 0
; COMPUTE_PGM_RSRC2:USER_SGPR: 2
; COMPUTE_PGM_RSRC2:TRAP_HANDLER: 0
; COMPUTE_PGM_RSRC2:TGID_X_EN: 1
; COMPUTE_PGM_RSRC2:TGID_Y_EN: 0
; COMPUTE_PGM_RSRC2:TGID_Z_EN: 1
; COMPUTE_PGM_RSRC2:TIDIG_COMP_CNT: 0
; COMPUTE_PGM_RSRC3_GFX90A:ACCUM_OFFSET: 10
; COMPUTE_PGM_RSRC3_GFX90A:TG_SPLIT: 0
	.section	.text._ZN9rocsolver6v33100L16reset_batch_infoI19rocblas_complex_numIdEiiPS3_EEvT2_lT0_T1_,"axG",@progbits,_ZN9rocsolver6v33100L16reset_batch_infoI19rocblas_complex_numIdEiiPS3_EEvT2_lT0_T1_,comdat
	.globl	_ZN9rocsolver6v33100L16reset_batch_infoI19rocblas_complex_numIdEiiPS3_EEvT2_lT0_T1_ ; -- Begin function _ZN9rocsolver6v33100L16reset_batch_infoI19rocblas_complex_numIdEiiPS3_EEvT2_lT0_T1_
	.p2align	8
	.type	_ZN9rocsolver6v33100L16reset_batch_infoI19rocblas_complex_numIdEiiPS3_EEvT2_lT0_T1_,@function
_ZN9rocsolver6v33100L16reset_batch_infoI19rocblas_complex_numIdEiiPS3_EEvT2_lT0_T1_: ; @_ZN9rocsolver6v33100L16reset_batch_infoI19rocblas_complex_numIdEiiPS3_EEvT2_lT0_T1_
; %bb.0:
	s_load_dword s6, s[0:1], 0x24
	s_load_dwordx2 s[4:5], s[0:1], 0x10
	s_waitcnt lgkmcnt(0)
	s_and_b32 s6, s6, 0xffff
	s_mul_i32 s2, s2, s6
	v_add_u32_e32 v0, s2, v0
	v_cmp_gt_i32_e32 vcc, s4, v0
	s_and_saveexec_b64 s[6:7], vcc
	s_cbranch_execz .LBB32_2
; %bb.1:
	s_load_dwordx4 s[8:11], s[0:1], 0x0
	s_ashr_i32 s0, s3, 31
	v_ashrrev_i32_e32 v1, 31, v0
	v_mov_b32_e32 v2, 0
	v_mov_b32_e32 v3, v2
	s_waitcnt lgkmcnt(0)
	s_mul_hi_u32 s1, s10, s3
	s_mul_i32 s2, s10, s0
	s_mul_i32 s4, s11, s3
	s_add_i32 s1, s1, s2
	s_mul_i32 s0, s10, s3
	s_add_i32 s1, s1, s4
	s_lshl_b64 s[0:1], s[0:1], 4
	s_add_u32 s0, s8, s0
	s_addc_u32 s1, s9, s1
	v_lshl_add_u64 v[4:5], v[0:1], 4, s[0:1]
	v_cvt_f64_i32_e32 v[0:1], s5
	global_store_dwordx4 v[4:5], v[0:3], off
.LBB32_2:
	s_endpgm
	.section	.rodata,"a",@progbits
	.p2align	6, 0x0
	.amdhsa_kernel _ZN9rocsolver6v33100L16reset_batch_infoI19rocblas_complex_numIdEiiPS3_EEvT2_lT0_T1_
		.amdhsa_group_segment_fixed_size 0
		.amdhsa_private_segment_fixed_size 0
		.amdhsa_kernarg_size 280
		.amdhsa_user_sgpr_count 2
		.amdhsa_user_sgpr_dispatch_ptr 0
		.amdhsa_user_sgpr_queue_ptr 0
		.amdhsa_user_sgpr_kernarg_segment_ptr 1
		.amdhsa_user_sgpr_dispatch_id 0
		.amdhsa_user_sgpr_kernarg_preload_length 0
		.amdhsa_user_sgpr_kernarg_preload_offset 0
		.amdhsa_user_sgpr_private_segment_size 0
		.amdhsa_uses_dynamic_stack 0
		.amdhsa_enable_private_segment 0
		.amdhsa_system_sgpr_workgroup_id_x 1
		.amdhsa_system_sgpr_workgroup_id_y 1
		.amdhsa_system_sgpr_workgroup_id_z 0
		.amdhsa_system_sgpr_workgroup_info 0
		.amdhsa_system_vgpr_workitem_id 0
		.amdhsa_next_free_vgpr 6
		.amdhsa_next_free_sgpr 12
		.amdhsa_accum_offset 8
		.amdhsa_reserve_vcc 1
		.amdhsa_float_round_mode_32 0
		.amdhsa_float_round_mode_16_64 0
		.amdhsa_float_denorm_mode_32 3
		.amdhsa_float_denorm_mode_16_64 3
		.amdhsa_dx10_clamp 1
		.amdhsa_ieee_mode 1
		.amdhsa_fp16_overflow 0
		.amdhsa_tg_split 0
		.amdhsa_exception_fp_ieee_invalid_op 0
		.amdhsa_exception_fp_denorm_src 0
		.amdhsa_exception_fp_ieee_div_zero 0
		.amdhsa_exception_fp_ieee_overflow 0
		.amdhsa_exception_fp_ieee_underflow 0
		.amdhsa_exception_fp_ieee_inexact 0
		.amdhsa_exception_int_div_zero 0
	.end_amdhsa_kernel
	.section	.text._ZN9rocsolver6v33100L16reset_batch_infoI19rocblas_complex_numIdEiiPS3_EEvT2_lT0_T1_,"axG",@progbits,_ZN9rocsolver6v33100L16reset_batch_infoI19rocblas_complex_numIdEiiPS3_EEvT2_lT0_T1_,comdat
.Lfunc_end32:
	.size	_ZN9rocsolver6v33100L16reset_batch_infoI19rocblas_complex_numIdEiiPS3_EEvT2_lT0_T1_, .Lfunc_end32-_ZN9rocsolver6v33100L16reset_batch_infoI19rocblas_complex_numIdEiiPS3_EEvT2_lT0_T1_
                                        ; -- End function
	.set _ZN9rocsolver6v33100L16reset_batch_infoI19rocblas_complex_numIdEiiPS3_EEvT2_lT0_T1_.num_vgpr, 6
	.set _ZN9rocsolver6v33100L16reset_batch_infoI19rocblas_complex_numIdEiiPS3_EEvT2_lT0_T1_.num_agpr, 0
	.set _ZN9rocsolver6v33100L16reset_batch_infoI19rocblas_complex_numIdEiiPS3_EEvT2_lT0_T1_.numbered_sgpr, 12
	.set _ZN9rocsolver6v33100L16reset_batch_infoI19rocblas_complex_numIdEiiPS3_EEvT2_lT0_T1_.num_named_barrier, 0
	.set _ZN9rocsolver6v33100L16reset_batch_infoI19rocblas_complex_numIdEiiPS3_EEvT2_lT0_T1_.private_seg_size, 0
	.set _ZN9rocsolver6v33100L16reset_batch_infoI19rocblas_complex_numIdEiiPS3_EEvT2_lT0_T1_.uses_vcc, 1
	.set _ZN9rocsolver6v33100L16reset_batch_infoI19rocblas_complex_numIdEiiPS3_EEvT2_lT0_T1_.uses_flat_scratch, 0
	.set _ZN9rocsolver6v33100L16reset_batch_infoI19rocblas_complex_numIdEiiPS3_EEvT2_lT0_T1_.has_dyn_sized_stack, 0
	.set _ZN9rocsolver6v33100L16reset_batch_infoI19rocblas_complex_numIdEiiPS3_EEvT2_lT0_T1_.has_recursion, 0
	.set _ZN9rocsolver6v33100L16reset_batch_infoI19rocblas_complex_numIdEiiPS3_EEvT2_lT0_T1_.has_indirect_call, 0
	.section	.AMDGPU.csdata,"",@progbits
; Kernel info:
; codeLenInByte = 136
; TotalNumSgprs: 18
; NumVgprs: 6
; NumAgprs: 0
; TotalNumVgprs: 6
; ScratchSize: 0
; MemoryBound: 0
; FloatMode: 240
; IeeeMode: 1
; LDSByteSize: 0 bytes/workgroup (compile time only)
; SGPRBlocks: 2
; VGPRBlocks: 0
; NumSGPRsForWavesPerEU: 18
; NumVGPRsForWavesPerEU: 6
; AccumOffset: 8
; Occupancy: 8
; WaveLimiterHint : 0
; COMPUTE_PGM_RSRC2:SCRATCH_EN: 0
; COMPUTE_PGM_RSRC2:USER_SGPR: 2
; COMPUTE_PGM_RSRC2:TRAP_HANDLER: 0
; COMPUTE_PGM_RSRC2:TGID_X_EN: 1
; COMPUTE_PGM_RSRC2:TGID_Y_EN: 1
; COMPUTE_PGM_RSRC2:TGID_Z_EN: 0
; COMPUTE_PGM_RSRC2:TIDIG_COMP_CNT: 0
; COMPUTE_PGM_RSRC3_GFX90A:ACCUM_OFFSET: 1
; COMPUTE_PGM_RSRC3_GFX90A:TG_SPLIT: 0
	.section	.text._ZN9rocsolver6v33100L8set_diagI19rocblas_complex_numIdEidPKPS3_TnNSt9enable_ifIXaa18rocblas_is_complexIT_Ent18rocblas_is_complexIT1_EEiE4typeELi0EEEvPS9_llT2_lT0_lSE_b,"axG",@progbits,_ZN9rocsolver6v33100L8set_diagI19rocblas_complex_numIdEidPKPS3_TnNSt9enable_ifIXaa18rocblas_is_complexIT_Ent18rocblas_is_complexIT1_EEiE4typeELi0EEEvPS9_llT2_lT0_lSE_b,comdat
	.globl	_ZN9rocsolver6v33100L8set_diagI19rocblas_complex_numIdEidPKPS3_TnNSt9enable_ifIXaa18rocblas_is_complexIT_Ent18rocblas_is_complexIT1_EEiE4typeELi0EEEvPS9_llT2_lT0_lSE_b ; -- Begin function _ZN9rocsolver6v33100L8set_diagI19rocblas_complex_numIdEidPKPS3_TnNSt9enable_ifIXaa18rocblas_is_complexIT_Ent18rocblas_is_complexIT1_EEiE4typeELi0EEEvPS9_llT2_lT0_lSE_b
	.p2align	8
	.type	_ZN9rocsolver6v33100L8set_diagI19rocblas_complex_numIdEidPKPS3_TnNSt9enable_ifIXaa18rocblas_is_complexIT_Ent18rocblas_is_complexIT1_EEiE4typeELi0EEEvPS9_llT2_lT0_lSE_b,@function
_ZN9rocsolver6v33100L8set_diagI19rocblas_complex_numIdEidPKPS3_TnNSt9enable_ifIXaa18rocblas_is_complexIT_Ent18rocblas_is_complexIT1_EEiE4typeELi0EEEvPS9_llT2_lT0_lSE_b: ; @_ZN9rocsolver6v33100L8set_diagI19rocblas_complex_numIdEidPKPS3_TnNSt9enable_ifIXaa18rocblas_is_complexIT_Ent18rocblas_is_complexIT1_EEiE4typeELi0EEEvPS9_llT2_lT0_lSE_b
; %bb.0:
	s_load_dword s4, s[0:1], 0x4c
	s_load_dwordx2 s[12:13], s[0:1], 0x38
	v_bfe_u32 v0, v0, 10, 10
	s_waitcnt lgkmcnt(0)
	s_lshr_b32 s4, s4, 16
	s_mul_i32 s3, s3, s4
	v_add_u32_e32 v2, s3, v0
	v_cmp_gt_i32_e32 vcc, s12, v2
	s_and_saveexec_b64 s[4:5], vcc
	s_cbranch_execz .LBB33_5
; %bb.1:
	s_load_dwordx8 s[4:11], s[0:1], 0x0
	s_load_dwordx2 s[14:15], s[0:1], 0x20
	s_bitcmp1_b32 s13, 0
	s_cselect_b64 s[12:13], -1, 0
	s_ashr_i32 s3, s2, 31
	s_lshl_b64 s[16:17], s[2:3], 3
	s_waitcnt lgkmcnt(0)
	s_add_u32 s10, s10, s16
	s_addc_u32 s11, s11, s17
	s_load_dwordx2 s[16:17], s[10:11], 0x0
	s_load_dword s18, s[0:1], 0x28
	s_lshl_b64 s[0:1], s[14:15], 4
	s_mul_i32 s3, s8, s3
	s_mul_i32 s9, s9, s2
	s_waitcnt lgkmcnt(0)
	s_add_u32 s0, s16, s0
	v_mad_u64_u32 v[0:1], s[10:11], v2, s18, v[2:3]
	s_addc_u32 s1, s17, s1
	v_ashrrev_i32_e32 v1, 31, v0
	v_lshl_add_u64 v[4:5], v[0:1], 4, s[0:1]
	flat_load_dwordx2 v[0:1], v[4:5]
	s_mul_hi_u32 s1, s8, s2
	s_add_i32 s1, s1, s3
	s_mul_i32 s0, s8, s2
	s_add_i32 s1, s1, s9
	s_lshl_b64 s[0:1], s[0:1], 3
	s_add_u32 s2, s4, s0
	s_addc_u32 s3, s5, s1
	s_lshl_b64 s[0:1], s[6:7], 3
	s_add_u32 s0, s2, s0
	v_ashrrev_i32_e32 v3, 31, v2
	s_addc_u32 s1, s3, s1
	s_and_b64 vcc, exec, s[12:13]
	v_lshl_add_u64 v[2:3], v[2:3], 3, s[0:1]
	s_waitcnt vmcnt(0) lgkmcnt(0)
	global_store_dwordx2 v[2:3], v[0:1], off
	s_cbranch_vccnz .LBB33_3
; %bb.2:
	flat_load_dwordx2 v[2:3], v[4:5] offset:8
	s_branch .LBB33_4
.LBB33_3:
	v_mov_b64_e32 v[0:1], 1.0
	v_mov_b64_e32 v[2:3], 0
.LBB33_4:
	s_waitcnt vmcnt(0) lgkmcnt(0)
	flat_store_dwordx4 v[4:5], v[0:3]
.LBB33_5:
	s_endpgm
	.section	.rodata,"a",@progbits
	.p2align	6, 0x0
	.amdhsa_kernel _ZN9rocsolver6v33100L8set_diagI19rocblas_complex_numIdEidPKPS3_TnNSt9enable_ifIXaa18rocblas_is_complexIT_Ent18rocblas_is_complexIT1_EEiE4typeELi0EEEvPS9_llT2_lT0_lSE_b
		.amdhsa_group_segment_fixed_size 0
		.amdhsa_private_segment_fixed_size 0
		.amdhsa_kernarg_size 320
		.amdhsa_user_sgpr_count 2
		.amdhsa_user_sgpr_dispatch_ptr 0
		.amdhsa_user_sgpr_queue_ptr 0
		.amdhsa_user_sgpr_kernarg_segment_ptr 1
		.amdhsa_user_sgpr_dispatch_id 0
		.amdhsa_user_sgpr_kernarg_preload_length 0
		.amdhsa_user_sgpr_kernarg_preload_offset 0
		.amdhsa_user_sgpr_private_segment_size 0
		.amdhsa_uses_dynamic_stack 0
		.amdhsa_enable_private_segment 0
		.amdhsa_system_sgpr_workgroup_id_x 1
		.amdhsa_system_sgpr_workgroup_id_y 1
		.amdhsa_system_sgpr_workgroup_id_z 0
		.amdhsa_system_sgpr_workgroup_info 0
		.amdhsa_system_vgpr_workitem_id 1
		.amdhsa_next_free_vgpr 6
		.amdhsa_next_free_sgpr 19
		.amdhsa_accum_offset 8
		.amdhsa_reserve_vcc 1
		.amdhsa_float_round_mode_32 0
		.amdhsa_float_round_mode_16_64 0
		.amdhsa_float_denorm_mode_32 3
		.amdhsa_float_denorm_mode_16_64 3
		.amdhsa_dx10_clamp 1
		.amdhsa_ieee_mode 1
		.amdhsa_fp16_overflow 0
		.amdhsa_tg_split 0
		.amdhsa_exception_fp_ieee_invalid_op 0
		.amdhsa_exception_fp_denorm_src 0
		.amdhsa_exception_fp_ieee_div_zero 0
		.amdhsa_exception_fp_ieee_overflow 0
		.amdhsa_exception_fp_ieee_underflow 0
		.amdhsa_exception_fp_ieee_inexact 0
		.amdhsa_exception_int_div_zero 0
	.end_amdhsa_kernel
	.section	.text._ZN9rocsolver6v33100L8set_diagI19rocblas_complex_numIdEidPKPS3_TnNSt9enable_ifIXaa18rocblas_is_complexIT_Ent18rocblas_is_complexIT1_EEiE4typeELi0EEEvPS9_llT2_lT0_lSE_b,"axG",@progbits,_ZN9rocsolver6v33100L8set_diagI19rocblas_complex_numIdEidPKPS3_TnNSt9enable_ifIXaa18rocblas_is_complexIT_Ent18rocblas_is_complexIT1_EEiE4typeELi0EEEvPS9_llT2_lT0_lSE_b,comdat
.Lfunc_end33:
	.size	_ZN9rocsolver6v33100L8set_diagI19rocblas_complex_numIdEidPKPS3_TnNSt9enable_ifIXaa18rocblas_is_complexIT_Ent18rocblas_is_complexIT1_EEiE4typeELi0EEEvPS9_llT2_lT0_lSE_b, .Lfunc_end33-_ZN9rocsolver6v33100L8set_diagI19rocblas_complex_numIdEidPKPS3_TnNSt9enable_ifIXaa18rocblas_is_complexIT_Ent18rocblas_is_complexIT1_EEiE4typeELi0EEEvPS9_llT2_lT0_lSE_b
                                        ; -- End function
	.set _ZN9rocsolver6v33100L8set_diagI19rocblas_complex_numIdEidPKPS3_TnNSt9enable_ifIXaa18rocblas_is_complexIT_Ent18rocblas_is_complexIT1_EEiE4typeELi0EEEvPS9_llT2_lT0_lSE_b.num_vgpr, 6
	.set _ZN9rocsolver6v33100L8set_diagI19rocblas_complex_numIdEidPKPS3_TnNSt9enable_ifIXaa18rocblas_is_complexIT_Ent18rocblas_is_complexIT1_EEiE4typeELi0EEEvPS9_llT2_lT0_lSE_b.num_agpr, 0
	.set _ZN9rocsolver6v33100L8set_diagI19rocblas_complex_numIdEidPKPS3_TnNSt9enable_ifIXaa18rocblas_is_complexIT_Ent18rocblas_is_complexIT1_EEiE4typeELi0EEEvPS9_llT2_lT0_lSE_b.numbered_sgpr, 19
	.set _ZN9rocsolver6v33100L8set_diagI19rocblas_complex_numIdEidPKPS3_TnNSt9enable_ifIXaa18rocblas_is_complexIT_Ent18rocblas_is_complexIT1_EEiE4typeELi0EEEvPS9_llT2_lT0_lSE_b.num_named_barrier, 0
	.set _ZN9rocsolver6v33100L8set_diagI19rocblas_complex_numIdEidPKPS3_TnNSt9enable_ifIXaa18rocblas_is_complexIT_Ent18rocblas_is_complexIT1_EEiE4typeELi0EEEvPS9_llT2_lT0_lSE_b.private_seg_size, 0
	.set _ZN9rocsolver6v33100L8set_diagI19rocblas_complex_numIdEidPKPS3_TnNSt9enable_ifIXaa18rocblas_is_complexIT_Ent18rocblas_is_complexIT1_EEiE4typeELi0EEEvPS9_llT2_lT0_lSE_b.uses_vcc, 1
	.set _ZN9rocsolver6v33100L8set_diagI19rocblas_complex_numIdEidPKPS3_TnNSt9enable_ifIXaa18rocblas_is_complexIT_Ent18rocblas_is_complexIT1_EEiE4typeELi0EEEvPS9_llT2_lT0_lSE_b.uses_flat_scratch, 0
	.set _ZN9rocsolver6v33100L8set_diagI19rocblas_complex_numIdEidPKPS3_TnNSt9enable_ifIXaa18rocblas_is_complexIT_Ent18rocblas_is_complexIT1_EEiE4typeELi0EEEvPS9_llT2_lT0_lSE_b.has_dyn_sized_stack, 0
	.set _ZN9rocsolver6v33100L8set_diagI19rocblas_complex_numIdEidPKPS3_TnNSt9enable_ifIXaa18rocblas_is_complexIT_Ent18rocblas_is_complexIT1_EEiE4typeELi0EEEvPS9_llT2_lT0_lSE_b.has_recursion, 0
	.set _ZN9rocsolver6v33100L8set_diagI19rocblas_complex_numIdEidPKPS3_TnNSt9enable_ifIXaa18rocblas_is_complexIT_Ent18rocblas_is_complexIT1_EEiE4typeELi0EEEvPS9_llT2_lT0_lSE_b.has_indirect_call, 0
	.section	.AMDGPU.csdata,"",@progbits
; Kernel info:
; codeLenInByte = 272
; TotalNumSgprs: 25
; NumVgprs: 6
; NumAgprs: 0
; TotalNumVgprs: 6
; ScratchSize: 0
; MemoryBound: 0
; FloatMode: 240
; IeeeMode: 1
; LDSByteSize: 0 bytes/workgroup (compile time only)
; SGPRBlocks: 3
; VGPRBlocks: 0
; NumSGPRsForWavesPerEU: 25
; NumVGPRsForWavesPerEU: 6
; AccumOffset: 8
; Occupancy: 8
; WaveLimiterHint : 1
; COMPUTE_PGM_RSRC2:SCRATCH_EN: 0
; COMPUTE_PGM_RSRC2:USER_SGPR: 2
; COMPUTE_PGM_RSRC2:TRAP_HANDLER: 0
; COMPUTE_PGM_RSRC2:TGID_X_EN: 1
; COMPUTE_PGM_RSRC2:TGID_Y_EN: 1
; COMPUTE_PGM_RSRC2:TGID_Z_EN: 0
; COMPUTE_PGM_RSRC2:TIDIG_COMP_CNT: 1
; COMPUTE_PGM_RSRC3_GFX90A:ACCUM_OFFSET: 1
; COMPUTE_PGM_RSRC3_GFX90A:TG_SPLIT: 0
	.section	.text._ZN9rocsolver6v33100L11set_taubetaI19rocblas_complex_numIdEidPKPS3_EEvPT_lS8_T2_llPT1_ll,"axG",@progbits,_ZN9rocsolver6v33100L11set_taubetaI19rocblas_complex_numIdEidPKPS3_EEvPT_lS8_T2_llPT1_ll,comdat
	.globl	_ZN9rocsolver6v33100L11set_taubetaI19rocblas_complex_numIdEidPKPS3_EEvPT_lS8_T2_llPT1_ll ; -- Begin function _ZN9rocsolver6v33100L11set_taubetaI19rocblas_complex_numIdEidPKPS3_EEvPT_lS8_T2_llPT1_ll
	.p2align	8
	.type	_ZN9rocsolver6v33100L11set_taubetaI19rocblas_complex_numIdEidPKPS3_EEvPT_lS8_T2_llPT1_ll,@function
_ZN9rocsolver6v33100L11set_taubetaI19rocblas_complex_numIdEidPKPS3_EEvPT_lS8_T2_llPT1_ll: ; @_ZN9rocsolver6v33100L11set_taubetaI19rocblas_complex_numIdEidPKPS3_EEvPT_lS8_T2_llPT1_ll
; %bb.0:
	s_load_dwordx8 s[4:11], s[0:1], 0x0
	s_load_dwordx2 s[20:21], s[0:1], 0x20
	s_load_dwordx4 s[12:15], s[0:1], 0x30
	s_ashr_i32 s3, s2, 31
	s_lshl_b64 s[16:17], s[2:3], 3
	s_waitcnt lgkmcnt(0)
	s_add_u32 s10, s10, s16
	s_addc_u32 s11, s11, s17
	s_load_dwordx2 s[10:11], s[10:11], 0x0
	s_mov_b64 s[18:19], 0
	s_cmp_eq_u64 s[12:13], 0
	s_mov_b64 s[16:17], 0
	s_cbranch_scc1 .LBB34_2
; %bb.1:
	s_load_dwordx2 s[0:1], s[0:1], 0x40
	s_waitcnt lgkmcnt(0)
	s_mul_i32 s16, s0, s3
	s_mul_hi_u32 s17, s0, s2
	s_mul_i32 s1, s1, s2
	s_add_i32 s16, s17, s16
	s_mul_i32 s0, s0, s2
	s_add_i32 s1, s16, s1
	s_lshl_b64 s[0:1], s[0:1], 3
	s_add_u32 s12, s12, s0
	s_addc_u32 s13, s13, s1
	s_lshl_b64 s[0:1], s[14:15], 3
	s_add_u32 s16, s12, s0
	s_addc_u32 s17, s13, s1
.LBB34_2:
	s_lshl_b64 s[0:1], s[20:21], 4
	s_waitcnt lgkmcnt(0)
	s_add_u32 s10, s10, s0
	s_addc_u32 s11, s11, s1
	v_mov_b64_e32 v[0:1], s[10:11]
	flat_load_dwordx2 v[2:3], v[0:1] offset:8
	s_mul_i32 s1, s6, s3
	s_mul_hi_u32 s12, s6, s2
	s_mul_i32 s7, s7, s2
	s_add_i32 s1, s12, s1
	s_mul_i32 s0, s6, s2
	s_add_i32 s1, s1, s7
	s_lshl_b64 s[0:1], s[0:1], 4
	s_add_u32 s6, s4, s0
	s_addc_u32 s7, s5, s1
	s_lshl_b64 s[0:1], s[2:3], 4
	s_add_u32 s8, s8, s0
	s_addc_u32 s9, s9, s1
	s_load_dwordx2 s[2:3], s[8:9], 0x0
	s_cmp_eq_u64 s[16:17], 0
	s_cselect_b64 s[4:5], -1, 0
	s_cmp_lg_u64 s[16:17], 0
	s_cselect_b64 s[0:1], -1, 0
	s_waitcnt lgkmcnt(0)
	v_max_f64 v[0:1], s[2:3], s[2:3]
	s_waitcnt vmcnt(0)
	v_mul_f64 v[4:5], v[2:3], v[2:3]
	v_max_f64 v[0:1], v[0:1], v[4:5]
	v_cmp_nlt_f64_e32 vcc, 0, v[0:1]
                                        ; implicit-def: $vgpr0_vgpr1
	s_and_saveexec_b64 s[12:13], vcc
	s_xor_b64 s[12:13], exec, s[12:13]
	s_cbranch_execnz .LBB34_7
; %bb.3:
	s_or_saveexec_b64 s[12:13], s[12:13]
	s_mov_b64 s[14:15], 0
	s_xor_b64 exec, exec, s[12:13]
	s_cbranch_execnz .LBB34_11
.LBB34_4:
	s_or_b64 exec, exec, s[12:13]
	s_and_saveexec_b64 s[0:1], s[18:19]
	s_cbranch_execnz .LBB34_12
.LBB34_5:
	s_or_b64 exec, exec, s[0:1]
	s_and_saveexec_b64 s[0:1], s[14:15]
	s_cbranch_execnz .LBB34_13
.LBB34_6:
	s_endpgm
.LBB34_7:
	v_mov_b32_e32 v0, 0
	v_mov_b32_e32 v1, 0x3ff00000
	;; [unrolled: 1-line block ×4, first 2 shown]
	global_store_dwordx4 v0, v[0:3], s[8:9]
	s_and_b64 vcc, exec, s[0:1]
	s_nop 0
	v_mov_b32_e32 v1, v0
	global_store_dwordx4 v0, v[0:3], s[6:7]
	s_cbranch_vccz .LBB34_9
; %bb.8:
	s_nop 0
	v_mov_b64_e32 v[0:1], s[10:11]
	flat_load_dwordx2 v[0:1], v[0:1]
	s_mov_b64 s[14:15], -1
	s_branch .LBB34_10
.LBB34_9:
	s_mov_b64 s[14:15], 0
                                        ; implicit-def: $vgpr0_vgpr1
.LBB34_10:
	s_and_b64 s[18:19], s[14:15], exec
                                        ; implicit-def: $vgpr4_vgpr5
                                        ; implicit-def: $vgpr2_vgpr3
	s_or_saveexec_b64 s[12:13], s[12:13]
	s_mov_b64 s[14:15], 0
	s_xor_b64 exec, exec, s[12:13]
	s_cbranch_execz .LBB34_4
.LBB34_11:
	s_waitcnt vmcnt(0) lgkmcnt(0)
	v_mov_b64_e32 v[0:1], s[10:11]
	flat_load_dwordx2 v[6:7], v[0:1]
	s_mov_b32 s20, 0
	s_brev_b32 s21, 8
	v_mov_b32_e32 v8, 0x100
	v_mov_b32_e32 v10, 0xffffff80
	;; [unrolled: 1-line block ×3, first 2 shown]
	s_and_b64 s[14:15], s[4:5], exec
	v_mov_b32_e32 v40, 0
	s_andn2_b64 s[18:19], s[18:19], exec
	s_waitcnt vmcnt(0) lgkmcnt(0)
	v_fma_f64 v[0:1], v[6:7], v[6:7], v[4:5]
	v_add_f64 v[0:1], s[2:3], v[0:1]
	v_cmp_gt_f64_e32 vcc, s[20:21], v[0:1]
	s_and_b64 s[20:21], s[0:1], exec
	s_or_b64 s[18:19], s[18:19], s[20:21]
	v_cndmask_b32_e32 v8, 0, v8, vcc
	v_ldexp_f64 v[0:1], v[0:1], v8
	v_rsq_f64_e32 v[8:9], v[0:1]
	v_cndmask_b32_e32 v15, 0, v10, vcc
	v_cmp_class_f64_e32 vcc, v[0:1], v14
	v_mul_f64 v[10:11], v[0:1], v[8:9]
	v_mul_f64 v[8:9], v[8:9], 0.5
	v_fma_f64 v[12:13], -v[8:9], v[10:11], 0.5
	v_fmac_f64_e32 v[10:11], v[10:11], v[12:13]
	v_fmac_f64_e32 v[8:9], v[8:9], v[12:13]
	v_fma_f64 v[12:13], -v[10:11], v[10:11], v[0:1]
	v_fmac_f64_e32 v[10:11], v[12:13], v[8:9]
	v_fma_f64 v[12:13], -v[10:11], v[10:11], v[0:1]
	v_fmac_f64_e32 v[10:11], v[12:13], v[8:9]
	v_ldexp_f64 v[8:9], v[10:11], v15
	v_cndmask_b32_e32 v1, v9, v1, vcc
	v_cndmask_b32_e32 v0, v8, v0, vcc
	v_xor_b32_e32 v8, 0x80000000, v1
	v_cmp_le_f64_e32 vcc, 0, v[6:7]
	s_nop 1
	v_cndmask_b32_e32 v1, v1, v8, vcc
	v_add_f64 v[8:9], v[6:7], -v[0:1]
	v_add_f64 v[10:11], v[0:1], -v[6:7]
	v_div_scale_f64 v[6:7], s[0:1], v[0:1], v[0:1], -v[2:3]
	v_fmac_f64_e32 v[4:5], v[8:9], v[8:9]
	v_div_scale_f64 v[14:15], s[2:3], v[0:1], v[0:1], v[10:11]
	v_rcp_f64_e32 v[18:19], v[6:7]
	v_div_scale_f64 v[20:21], s[4:5], v[4:5], v[4:5], v[8:9]
	v_div_scale_f64 v[24:25], s[4:5], v[4:5], v[4:5], -v[2:3]
	v_rcp_f64_e32 v[28:29], v[14:15]
	v_rcp_f64_e32 v[30:31], v[20:21]
	v_rcp_f64_e32 v[32:33], v[24:25]
	v_fma_f64 v[34:35], -v[6:7], v[18:19], 1.0
	v_fma_f64 v[36:37], -v[14:15], v[28:29], 1.0
	v_fmac_f64_e32 v[18:19], v[18:19], v[34:35]
	v_fma_f64 v[34:35], -v[20:21], v[30:31], 1.0
	v_fma_f64 v[38:39], -v[24:25], v[32:33], 1.0
	v_fmac_f64_e32 v[28:29], v[28:29], v[36:37]
	v_fma_f64 v[36:37], -v[6:7], v[18:19], 1.0
	v_fmac_f64_e32 v[30:31], v[30:31], v[34:35]
	v_div_scale_f64 v[12:13], s[0:1], -v[2:3], v[0:1], -v[2:3]
	v_fmac_f64_e32 v[32:33], v[32:33], v[38:39]
	v_fma_f64 v[34:35], -v[14:15], v[28:29], 1.0
	v_fmac_f64_e32 v[18:19], v[18:19], v[36:37]
	v_fma_f64 v[36:37], -v[20:21], v[30:31], 1.0
	v_div_scale_f64 v[16:17], s[2:3], v[10:11], v[0:1], v[10:11]
	v_div_scale_f64 v[22:23], vcc, v[8:9], v[4:5], v[8:9]
	v_fma_f64 v[38:39], -v[24:25], v[32:33], 1.0
	v_fmac_f64_e32 v[28:29], v[28:29], v[34:35]
	v_mul_f64 v[34:35], v[12:13], v[18:19]
	v_fmac_f64_e32 v[30:31], v[30:31], v[36:37]
	v_div_scale_f64 v[26:27], s[4:5], -v[2:3], v[4:5], -v[2:3]
	v_fmac_f64_e32 v[32:33], v[32:33], v[38:39]
	v_mul_f64 v[36:37], v[16:17], v[28:29]
	v_fma_f64 v[12:13], -v[6:7], v[34:35], v[12:13]
	v_mul_f64 v[6:7], v[22:23], v[30:31]
	v_mul_f64 v[38:39], v[26:27], v[32:33]
	v_fma_f64 v[14:15], -v[14:15], v[36:37], v[16:17]
	v_fma_f64 v[16:17], -v[20:21], v[6:7], v[22:23]
	;; [unrolled: 1-line block ×3, first 2 shown]
	v_div_fmas_f64 v[6:7], v[16:17], v[30:31], v[6:7]
	s_mov_b64 vcc, s[4:5]
	v_div_fixup_f64 v[6:7], v[6:7], v[4:5], v[8:9]
	v_div_fmas_f64 v[8:9], v[20:21], v[32:33], v[38:39]
	s_mov_b64 vcc, s[2:3]
	v_div_fixup_f64 v[8:9], v[8:9], v[4:5], -v[2:3]
	v_div_fmas_f64 v[4:5], v[14:15], v[28:29], v[36:37]
	s_mov_b64 vcc, s[0:1]
	global_store_dwordx4 v40, v[6:9], s[8:9]
	v_div_fixup_f64 v[4:5], v[4:5], v[0:1], v[10:11]
	s_nop 0
	v_div_fmas_f64 v[6:7], v[12:13], v[18:19], v[34:35]
	v_div_fixup_f64 v[6:7], v[6:7], v[0:1], -v[2:3]
	global_store_dwordx4 v40, v[4:7], s[6:7]
	s_or_b64 exec, exec, s[12:13]
	s_and_saveexec_b64 s[0:1], s[18:19]
	s_cbranch_execz .LBB34_5
.LBB34_12:
	v_mov_b32_e32 v2, 0
	s_waitcnt vmcnt(0) lgkmcnt(0)
	global_store_dwordx2 v2, v[0:1], s[16:17]
	v_mov_b64_e32 v[0:1], 1.0
	s_or_b64 s[14:15], s[14:15], exec
	s_or_b64 exec, exec, s[0:1]
	s_and_saveexec_b64 s[0:1], s[14:15]
	s_cbranch_execz .LBB34_6
.LBB34_13:
	v_mov_b32_e32 v2, 0
	v_mov_b32_e32 v3, v2
	v_mov_b64_e32 v[4:5], s[10:11]
	s_waitcnt vmcnt(0) lgkmcnt(0)
	flat_store_dwordx4 v[4:5], v[0:3]
	s_endpgm
	.section	.rodata,"a",@progbits
	.p2align	6, 0x0
	.amdhsa_kernel _ZN9rocsolver6v33100L11set_taubetaI19rocblas_complex_numIdEidPKPS3_EEvPT_lS8_T2_llPT1_ll
		.amdhsa_group_segment_fixed_size 0
		.amdhsa_private_segment_fixed_size 0
		.amdhsa_kernarg_size 72
		.amdhsa_user_sgpr_count 2
		.amdhsa_user_sgpr_dispatch_ptr 0
		.amdhsa_user_sgpr_queue_ptr 0
		.amdhsa_user_sgpr_kernarg_segment_ptr 1
		.amdhsa_user_sgpr_dispatch_id 0
		.amdhsa_user_sgpr_kernarg_preload_length 0
		.amdhsa_user_sgpr_kernarg_preload_offset 0
		.amdhsa_user_sgpr_private_segment_size 0
		.amdhsa_uses_dynamic_stack 0
		.amdhsa_enable_private_segment 0
		.amdhsa_system_sgpr_workgroup_id_x 1
		.amdhsa_system_sgpr_workgroup_id_y 0
		.amdhsa_system_sgpr_workgroup_id_z 0
		.amdhsa_system_sgpr_workgroup_info 0
		.amdhsa_system_vgpr_workitem_id 0
		.amdhsa_next_free_vgpr 41
		.amdhsa_next_free_sgpr 22
		.amdhsa_accum_offset 44
		.amdhsa_reserve_vcc 1
		.amdhsa_float_round_mode_32 0
		.amdhsa_float_round_mode_16_64 0
		.amdhsa_float_denorm_mode_32 3
		.amdhsa_float_denorm_mode_16_64 3
		.amdhsa_dx10_clamp 1
		.amdhsa_ieee_mode 1
		.amdhsa_fp16_overflow 0
		.amdhsa_tg_split 0
		.amdhsa_exception_fp_ieee_invalid_op 0
		.amdhsa_exception_fp_denorm_src 0
		.amdhsa_exception_fp_ieee_div_zero 0
		.amdhsa_exception_fp_ieee_overflow 0
		.amdhsa_exception_fp_ieee_underflow 0
		.amdhsa_exception_fp_ieee_inexact 0
		.amdhsa_exception_int_div_zero 0
	.end_amdhsa_kernel
	.section	.text._ZN9rocsolver6v33100L11set_taubetaI19rocblas_complex_numIdEidPKPS3_EEvPT_lS8_T2_llPT1_ll,"axG",@progbits,_ZN9rocsolver6v33100L11set_taubetaI19rocblas_complex_numIdEidPKPS3_EEvPT_lS8_T2_llPT1_ll,comdat
.Lfunc_end34:
	.size	_ZN9rocsolver6v33100L11set_taubetaI19rocblas_complex_numIdEidPKPS3_EEvPT_lS8_T2_llPT1_ll, .Lfunc_end34-_ZN9rocsolver6v33100L11set_taubetaI19rocblas_complex_numIdEidPKPS3_EEvPT_lS8_T2_llPT1_ll
                                        ; -- End function
	.set _ZN9rocsolver6v33100L11set_taubetaI19rocblas_complex_numIdEidPKPS3_EEvPT_lS8_T2_llPT1_ll.num_vgpr, 41
	.set _ZN9rocsolver6v33100L11set_taubetaI19rocblas_complex_numIdEidPKPS3_EEvPT_lS8_T2_llPT1_ll.num_agpr, 0
	.set _ZN9rocsolver6v33100L11set_taubetaI19rocblas_complex_numIdEidPKPS3_EEvPT_lS8_T2_llPT1_ll.numbered_sgpr, 22
	.set _ZN9rocsolver6v33100L11set_taubetaI19rocblas_complex_numIdEidPKPS3_EEvPT_lS8_T2_llPT1_ll.num_named_barrier, 0
	.set _ZN9rocsolver6v33100L11set_taubetaI19rocblas_complex_numIdEidPKPS3_EEvPT_lS8_T2_llPT1_ll.private_seg_size, 0
	.set _ZN9rocsolver6v33100L11set_taubetaI19rocblas_complex_numIdEidPKPS3_EEvPT_lS8_T2_llPT1_ll.uses_vcc, 1
	.set _ZN9rocsolver6v33100L11set_taubetaI19rocblas_complex_numIdEidPKPS3_EEvPT_lS8_T2_llPT1_ll.uses_flat_scratch, 0
	.set _ZN9rocsolver6v33100L11set_taubetaI19rocblas_complex_numIdEidPKPS3_EEvPT_lS8_T2_llPT1_ll.has_dyn_sized_stack, 0
	.set _ZN9rocsolver6v33100L11set_taubetaI19rocblas_complex_numIdEidPKPS3_EEvPT_lS8_T2_llPT1_ll.has_recursion, 0
	.set _ZN9rocsolver6v33100L11set_taubetaI19rocblas_complex_numIdEidPKPS3_EEvPT_lS8_T2_llPT1_ll.has_indirect_call, 0
	.section	.AMDGPU.csdata,"",@progbits
; Kernel info:
; codeLenInByte = 1060
; TotalNumSgprs: 28
; NumVgprs: 41
; NumAgprs: 0
; TotalNumVgprs: 41
; ScratchSize: 0
; MemoryBound: 0
; FloatMode: 240
; IeeeMode: 1
; LDSByteSize: 0 bytes/workgroup (compile time only)
; SGPRBlocks: 3
; VGPRBlocks: 5
; NumSGPRsForWavesPerEU: 28
; NumVGPRsForWavesPerEU: 41
; AccumOffset: 44
; Occupancy: 8
; WaveLimiterHint : 1
; COMPUTE_PGM_RSRC2:SCRATCH_EN: 0
; COMPUTE_PGM_RSRC2:USER_SGPR: 2
; COMPUTE_PGM_RSRC2:TRAP_HANDLER: 0
; COMPUTE_PGM_RSRC2:TGID_X_EN: 1
; COMPUTE_PGM_RSRC2:TGID_Y_EN: 0
; COMPUTE_PGM_RSRC2:TGID_Z_EN: 0
; COMPUTE_PGM_RSRC2:TIDIG_COMP_CNT: 0
; COMPUTE_PGM_RSRC3_GFX90A:ACCUM_OFFSET: 10
; COMPUTE_PGM_RSRC3_GFX90A:TG_SPLIT: 0
	.section	.text._ZN9rocsolver6v33100L13conj_in_placeI19rocblas_complex_numIdEiPS3_TnNSt9enable_ifIX18rocblas_is_complexIT_EEiE4typeELi0EEEvT0_S9_T1_lS9_l,"axG",@progbits,_ZN9rocsolver6v33100L13conj_in_placeI19rocblas_complex_numIdEiPS3_TnNSt9enable_ifIX18rocblas_is_complexIT_EEiE4typeELi0EEEvT0_S9_T1_lS9_l,comdat
	.globl	_ZN9rocsolver6v33100L13conj_in_placeI19rocblas_complex_numIdEiPS3_TnNSt9enable_ifIX18rocblas_is_complexIT_EEiE4typeELi0EEEvT0_S9_T1_lS9_l ; -- Begin function _ZN9rocsolver6v33100L13conj_in_placeI19rocblas_complex_numIdEiPS3_TnNSt9enable_ifIX18rocblas_is_complexIT_EEiE4typeELi0EEEvT0_S9_T1_lS9_l
	.p2align	8
	.type	_ZN9rocsolver6v33100L13conj_in_placeI19rocblas_complex_numIdEiPS3_TnNSt9enable_ifIX18rocblas_is_complexIT_EEiE4typeELi0EEEvT0_S9_T1_lS9_l,@function
_ZN9rocsolver6v33100L13conj_in_placeI19rocblas_complex_numIdEiPS3_TnNSt9enable_ifIX18rocblas_is_complexIT_EEiE4typeELi0EEEvT0_S9_T1_lS9_l: ; @_ZN9rocsolver6v33100L13conj_in_placeI19rocblas_complex_numIdEiPS3_TnNSt9enable_ifIX18rocblas_is_complexIT_EEiE4typeELi0EEEvT0_S9_T1_lS9_l
; %bb.0:
	s_load_dword s5, s[0:1], 0x34
	s_load_dwordx2 s[6:7], s[0:1], 0x0
	v_and_b32_e32 v1, 0x3ff, v0
	v_bfe_u32 v0, v0, 10, 10
	s_waitcnt lgkmcnt(0)
	s_lshr_b32 s8, s5, 16
	s_and_b32 s5, s5, 0xffff
	s_mul_i32 s2, s2, s5
	s_mul_i32 s3, s3, s8
	v_add_u32_e32 v2, s2, v1
	v_add_u32_e32 v0, s3, v0
	v_cmp_gt_i32_e32 vcc, s6, v2
	v_cmp_gt_i32_e64 s[2:3], s7, v0
	s_and_b64 s[2:3], vcc, s[2:3]
	s_and_saveexec_b64 s[6:7], s[2:3]
	s_cbranch_execz .LBB35_2
; %bb.1:
	s_load_dwordx2 s[2:3], s[0:1], 0x20
	s_load_dwordx4 s[8:11], s[0:1], 0x8
	s_load_dword s5, s[0:1], 0x18
	s_ashr_i32 s0, s4, 31
	v_ashrrev_i32_e32 v3, 31, v2
	s_waitcnt lgkmcnt(0)
	s_mul_hi_u32 s1, s2, s4
	s_mul_i32 s0, s2, s0
	s_add_i32 s0, s1, s0
	s_mul_i32 s1, s3, s4
	s_add_i32 s1, s0, s1
	s_mul_i32 s0, s2, s4
	s_lshl_b64 s[0:1], s[0:1], 4
	s_add_u32 s2, s8, s0
	s_addc_u32 s3, s9, s1
	s_lshl_b64 s[0:1], s[10:11], 4
	s_add_u32 s0, s2, s0
	s_addc_u32 s1, s3, s1
	v_mad_i64_i32 v[0:1], s[2:3], v0, s5, 0
	v_lshl_add_u64 v[4:5], v[0:1], 4, s[0:1]
	v_lshl_add_u64 v[4:5], v[2:3], 4, v[4:5]
	global_load_dwordx4 v[4:7], v[4:5], off
	v_add_u32_e32 v0, v0, v2
	v_ashrrev_i32_e32 v1, 31, v0
	v_lshl_add_u64 v[0:1], v[0:1], 4, s[0:1]
	s_waitcnt vmcnt(0)
	v_xor_b32_e32 v7, 0x80000000, v7
	global_store_dwordx4 v[0:1], v[4:7], off
.LBB35_2:
	s_endpgm
	.section	.rodata,"a",@progbits
	.p2align	6, 0x0
	.amdhsa_kernel _ZN9rocsolver6v33100L13conj_in_placeI19rocblas_complex_numIdEiPS3_TnNSt9enable_ifIX18rocblas_is_complexIT_EEiE4typeELi0EEEvT0_S9_T1_lS9_l
		.amdhsa_group_segment_fixed_size 0
		.amdhsa_private_segment_fixed_size 0
		.amdhsa_kernarg_size 296
		.amdhsa_user_sgpr_count 2
		.amdhsa_user_sgpr_dispatch_ptr 0
		.amdhsa_user_sgpr_queue_ptr 0
		.amdhsa_user_sgpr_kernarg_segment_ptr 1
		.amdhsa_user_sgpr_dispatch_id 0
		.amdhsa_user_sgpr_kernarg_preload_length 0
		.amdhsa_user_sgpr_kernarg_preload_offset 0
		.amdhsa_user_sgpr_private_segment_size 0
		.amdhsa_uses_dynamic_stack 0
		.amdhsa_enable_private_segment 0
		.amdhsa_system_sgpr_workgroup_id_x 1
		.amdhsa_system_sgpr_workgroup_id_y 1
		.amdhsa_system_sgpr_workgroup_id_z 1
		.amdhsa_system_sgpr_workgroup_info 0
		.amdhsa_system_vgpr_workitem_id 1
		.amdhsa_next_free_vgpr 8
		.amdhsa_next_free_sgpr 12
		.amdhsa_accum_offset 8
		.amdhsa_reserve_vcc 1
		.amdhsa_float_round_mode_32 0
		.amdhsa_float_round_mode_16_64 0
		.amdhsa_float_denorm_mode_32 3
		.amdhsa_float_denorm_mode_16_64 3
		.amdhsa_dx10_clamp 1
		.amdhsa_ieee_mode 1
		.amdhsa_fp16_overflow 0
		.amdhsa_tg_split 0
		.amdhsa_exception_fp_ieee_invalid_op 0
		.amdhsa_exception_fp_denorm_src 0
		.amdhsa_exception_fp_ieee_div_zero 0
		.amdhsa_exception_fp_ieee_overflow 0
		.amdhsa_exception_fp_ieee_underflow 0
		.amdhsa_exception_fp_ieee_inexact 0
		.amdhsa_exception_int_div_zero 0
	.end_amdhsa_kernel
	.section	.text._ZN9rocsolver6v33100L13conj_in_placeI19rocblas_complex_numIdEiPS3_TnNSt9enable_ifIX18rocblas_is_complexIT_EEiE4typeELi0EEEvT0_S9_T1_lS9_l,"axG",@progbits,_ZN9rocsolver6v33100L13conj_in_placeI19rocblas_complex_numIdEiPS3_TnNSt9enable_ifIX18rocblas_is_complexIT_EEiE4typeELi0EEEvT0_S9_T1_lS9_l,comdat
.Lfunc_end35:
	.size	_ZN9rocsolver6v33100L13conj_in_placeI19rocblas_complex_numIdEiPS3_TnNSt9enable_ifIX18rocblas_is_complexIT_EEiE4typeELi0EEEvT0_S9_T1_lS9_l, .Lfunc_end35-_ZN9rocsolver6v33100L13conj_in_placeI19rocblas_complex_numIdEiPS3_TnNSt9enable_ifIX18rocblas_is_complexIT_EEiE4typeELi0EEEvT0_S9_T1_lS9_l
                                        ; -- End function
	.set _ZN9rocsolver6v33100L13conj_in_placeI19rocblas_complex_numIdEiPS3_TnNSt9enable_ifIX18rocblas_is_complexIT_EEiE4typeELi0EEEvT0_S9_T1_lS9_l.num_vgpr, 8
	.set _ZN9rocsolver6v33100L13conj_in_placeI19rocblas_complex_numIdEiPS3_TnNSt9enable_ifIX18rocblas_is_complexIT_EEiE4typeELi0EEEvT0_S9_T1_lS9_l.num_agpr, 0
	.set _ZN9rocsolver6v33100L13conj_in_placeI19rocblas_complex_numIdEiPS3_TnNSt9enable_ifIX18rocblas_is_complexIT_EEiE4typeELi0EEEvT0_S9_T1_lS9_l.numbered_sgpr, 12
	.set _ZN9rocsolver6v33100L13conj_in_placeI19rocblas_complex_numIdEiPS3_TnNSt9enable_ifIX18rocblas_is_complexIT_EEiE4typeELi0EEEvT0_S9_T1_lS9_l.num_named_barrier, 0
	.set _ZN9rocsolver6v33100L13conj_in_placeI19rocblas_complex_numIdEiPS3_TnNSt9enable_ifIX18rocblas_is_complexIT_EEiE4typeELi0EEEvT0_S9_T1_lS9_l.private_seg_size, 0
	.set _ZN9rocsolver6v33100L13conj_in_placeI19rocblas_complex_numIdEiPS3_TnNSt9enable_ifIX18rocblas_is_complexIT_EEiE4typeELi0EEEvT0_S9_T1_lS9_l.uses_vcc, 1
	.set _ZN9rocsolver6v33100L13conj_in_placeI19rocblas_complex_numIdEiPS3_TnNSt9enable_ifIX18rocblas_is_complexIT_EEiE4typeELi0EEEvT0_S9_T1_lS9_l.uses_flat_scratch, 0
	.set _ZN9rocsolver6v33100L13conj_in_placeI19rocblas_complex_numIdEiPS3_TnNSt9enable_ifIX18rocblas_is_complexIT_EEiE4typeELi0EEEvT0_S9_T1_lS9_l.has_dyn_sized_stack, 0
	.set _ZN9rocsolver6v33100L13conj_in_placeI19rocblas_complex_numIdEiPS3_TnNSt9enable_ifIX18rocblas_is_complexIT_EEiE4typeELi0EEEvT0_S9_T1_lS9_l.has_recursion, 0
	.set _ZN9rocsolver6v33100L13conj_in_placeI19rocblas_complex_numIdEiPS3_TnNSt9enable_ifIX18rocblas_is_complexIT_EEiE4typeELi0EEEvT0_S9_T1_lS9_l.has_indirect_call, 0
	.section	.AMDGPU.csdata,"",@progbits
; Kernel info:
; codeLenInByte = 244
; TotalNumSgprs: 18
; NumVgprs: 8
; NumAgprs: 0
; TotalNumVgprs: 8
; ScratchSize: 0
; MemoryBound: 0
; FloatMode: 240
; IeeeMode: 1
; LDSByteSize: 0 bytes/workgroup (compile time only)
; SGPRBlocks: 2
; VGPRBlocks: 0
; NumSGPRsForWavesPerEU: 18
; NumVGPRsForWavesPerEU: 8
; AccumOffset: 8
; Occupancy: 8
; WaveLimiterHint : 0
; COMPUTE_PGM_RSRC2:SCRATCH_EN: 0
; COMPUTE_PGM_RSRC2:USER_SGPR: 2
; COMPUTE_PGM_RSRC2:TRAP_HANDLER: 0
; COMPUTE_PGM_RSRC2:TGID_X_EN: 1
; COMPUTE_PGM_RSRC2:TGID_Y_EN: 1
; COMPUTE_PGM_RSRC2:TGID_Z_EN: 1
; COMPUTE_PGM_RSRC2:TIDIG_COMP_CNT: 1
; COMPUTE_PGM_RSRC3_GFX90A:ACCUM_OFFSET: 1
; COMPUTE_PGM_RSRC3_GFX90A:TG_SPLIT: 0
	.section	.text._ZN9rocsolver6v33100L16larf_left_kernelILi1024E19rocblas_complex_numIdEiPKPS3_EEvT1_S7_T2_lS7_lPKT0_lS8_lS7_l,"axG",@progbits,_ZN9rocsolver6v33100L16larf_left_kernelILi1024E19rocblas_complex_numIdEiPKPS3_EEvT1_S7_T2_lS7_lPKT0_lS8_lS7_l,comdat
	.globl	_ZN9rocsolver6v33100L16larf_left_kernelILi1024E19rocblas_complex_numIdEiPKPS3_EEvT1_S7_T2_lS7_lPKT0_lS8_lS7_l ; -- Begin function _ZN9rocsolver6v33100L16larf_left_kernelILi1024E19rocblas_complex_numIdEiPKPS3_EEvT1_S7_T2_lS7_lPKT0_lS8_lS7_l
	.p2align	8
	.type	_ZN9rocsolver6v33100L16larf_left_kernelILi1024E19rocblas_complex_numIdEiPKPS3_EEvT1_S7_T2_lS7_lPKT0_lS8_lS7_l,@function
_ZN9rocsolver6v33100L16larf_left_kernelILi1024E19rocblas_complex_numIdEiPKPS3_EEvT1_S7_T2_lS7_lPKT0_lS8_lS7_l: ; @_ZN9rocsolver6v33100L16larf_left_kernelILi1024E19rocblas_complex_numIdEiPKPS3_EEvT1_S7_T2_lS7_lPKT0_lS8_lS7_l
; %bb.0:
	s_load_dwordx8 s[8:15], s[0:1], 0x28
	s_load_dword s20, s[0:1], 0x0
	s_load_dword s2, s[0:1], 0x48
	s_ashr_i32 s5, s4, 31
	s_lshl_b64 s[16:17], s[4:5], 3
	s_waitcnt lgkmcnt(0)
	s_add_u32 s6, s12, s16
	s_addc_u32 s7, s13, s17
	s_load_dwordx2 s[6:7], s[6:7], 0x0
	v_cmp_gt_i32_e32 vcc, s20, v0
	v_mov_b64_e32 v[2:3], 0
	s_mul_hi_i32 s13, s3, s2
	s_mul_i32 s12, s3, s2
	v_mov_b64_e32 v[4:5], 0
	s_and_saveexec_b64 s[2:3], vcc
	s_cbranch_execz .LBB36_6
; %bb.1:
	s_load_dword s18, s[0:1], 0x18
	s_load_dwordx4 s[24:27], s[0:1], 0x8
	s_sub_i32 s0, 1, s20
	v_lshl_add_u32 v1, v0, 4, 0
	v_add_u32_e32 v1, 0x100, v1
	s_waitcnt lgkmcnt(0)
	s_ashr_i32 s19, s18, 31
	s_mul_i32 s21, s18, s0
	v_cmp_lt_i64_e64 s[0:1], s[18:19], 1
	s_and_b64 s[0:1], s[0:1], exec
	s_cselect_b32 s0, s21, 0
	s_ashr_i32 s1, s0, 31
	s_add_u32 s16, s24, s16
	s_addc_u32 s17, s25, s17
	s_load_dwordx2 s[16:17], s[16:17], 0x0
	v_mad_i64_i32 v[2:3], s[22:23], s18, v0, 0
	s_lshl_b64 s[22:23], s[26:27], 4
	s_lshl_b64 s[0:1], s[0:1], 4
	s_waitcnt lgkmcnt(0)
	s_add_u32 s0, s16, s0
	s_addc_u32 s1, s17, s1
	s_add_u32 s0, s0, s22
	s_addc_u32 s1, s1, s23
	v_lshl_add_u64 v[2:3], v[2:3], 4, s[0:1]
	s_lshl_b64 s[18:19], s[18:19], 14
	s_mov_b64 s[16:17], 0
	v_mov_b32_e32 v4, v1
	v_mov_b32_e32 v5, v0
.LBB36_2:                               ; =>This Inner Loop Header: Depth=1
	flat_load_dwordx4 v[6:9], v[2:3]
	v_add_u32_e32 v5, 0x400, v5
	v_cmp_le_i32_e64 s[0:1], s20, v5
	v_lshl_add_u64 v[2:3], v[2:3], 0, s[18:19]
	s_or_b64 s[16:17], s[0:1], s[16:17]
	s_waitcnt vmcnt(0) lgkmcnt(0)
	ds_write2_b64 v4, v[6:7], v[8:9] offset1:1
	v_add_u32_e32 v4, 0x4000, v4
	s_andn2_b64 exec, exec, s[16:17]
	s_cbranch_execnz .LBB36_2
; %bb.3:
	s_or_b64 exec, exec, s[16:17]
	s_lshl_b64 s[0:1], s[12:13], 4
	s_lshl_b64 s[16:17], s[14:15], 4
	s_add_u32 s0, s0, s16
	s_addc_u32 s1, s1, s17
	s_add_u32 s0, s6, s0
	v_lshlrev_b32_e32 v2, 4, v0
	v_mov_b32_e32 v3, 0
	s_addc_u32 s1, s7, s1
	v_lshl_add_u64 v[6:7], s[0:1], 0, v[2:3]
	v_mov_b64_e32 v[2:3], 0
	s_mov_b64 s[16:17], 0
	s_mov_b64 s[18:19], 0x4000
	v_mov_b32_e32 v8, v0
	v_mov_b64_e32 v[4:5], 0
.LBB36_4:                               ; =>This Inner Loop Header: Depth=1
	flat_load_dwordx4 v[10:13], v[6:7]
	ds_read2_b64 v[14:17], v1 offset1:1
	v_add_u32_e32 v8, 0x400, v8
	v_cmp_le_i32_e64 s[0:1], s20, v8
	v_add_u32_e32 v1, 0x4000, v1
	v_lshl_add_u64 v[6:7], v[6:7], 0, s[18:19]
	s_or_b64 s[16:17], s[0:1], s[16:17]
	s_waitcnt vmcnt(0) lgkmcnt(0)
	v_mul_f64 v[18:19], v[12:13], v[16:17]
	v_mul_f64 v[12:13], v[12:13], v[14:15]
	v_fmac_f64_e32 v[18:19], v[10:11], v[14:15]
	v_fma_f64 v[10:11], v[10:11], v[16:17], -v[12:13]
	v_add_f64 v[4:5], v[4:5], v[18:19]
	v_add_f64 v[2:3], v[2:3], v[10:11]
	s_andn2_b64 exec, exec, s[16:17]
	s_cbranch_execnz .LBB36_4
; %bb.5:
	s_or_b64 exec, exec, s[16:17]
.LBB36_6:
	s_or_b64 exec, exec, s[2:3]
	v_mbcnt_lo_u32_b32 v1, -1, 0
	v_mbcnt_hi_u32_b32 v1, -1, v1
	v_and_b32_e32 v10, 63, v1
	v_cmp_ne_u32_e64 s[0:1], 63, v10
	s_nop 1
	v_addc_co_u32_e64 v6, s[0:1], 0, v1, s[0:1]
	v_lshlrev_b32_e32 v9, 2, v6
	ds_bpermute_b32 v6, v9, v4
	ds_bpermute_b32 v7, v9, v5
	;; [unrolled: 1-line block ×4, first 2 shown]
	v_cmp_gt_u32_e64 s[0:1], 62, v10
	s_waitcnt lgkmcnt(0)
	v_add_f64 v[4:5], v[4:5], v[6:7]
	v_cndmask_b32_e64 v6, 0, 2, s[0:1]
	v_add_f64 v[2:3], v[2:3], v[8:9]
	v_add_lshl_u32 v9, v6, v1, 2
	ds_bpermute_b32 v6, v9, v4
	ds_bpermute_b32 v7, v9, v5
	ds_bpermute_b32 v8, v9, v2
	ds_bpermute_b32 v9, v9, v3
	v_cmp_gt_u32_e64 s[0:1], 60, v10
	s_waitcnt lgkmcnt(2)
	v_add_f64 v[4:5], v[4:5], v[6:7]
	v_cndmask_b32_e64 v6, 0, 4, s[0:1]
	s_waitcnt lgkmcnt(0)
	v_add_f64 v[2:3], v[2:3], v[8:9]
	v_add_lshl_u32 v9, v6, v1, 2
	ds_bpermute_b32 v6, v9, v4
	ds_bpermute_b32 v7, v9, v5
	ds_bpermute_b32 v8, v9, v2
	ds_bpermute_b32 v9, v9, v3
	v_cmp_gt_u32_e64 s[0:1], 56, v10
	s_waitcnt lgkmcnt(2)
	v_add_f64 v[4:5], v[4:5], v[6:7]
	v_cndmask_b32_e64 v6, 0, 8, s[0:1]
	s_waitcnt lgkmcnt(0)
	v_add_f64 v[2:3], v[2:3], v[8:9]
	v_add_lshl_u32 v9, v6, v1, 2
	ds_bpermute_b32 v6, v9, v4
	ds_bpermute_b32 v7, v9, v5
	ds_bpermute_b32 v8, v9, v2
	ds_bpermute_b32 v9, v9, v3
	v_cmp_gt_u32_e64 s[0:1], 48, v10
	s_waitcnt lgkmcnt(2)
	v_add_f64 v[4:5], v[4:5], v[6:7]
	v_cndmask_b32_e64 v6, 0, 16, s[0:1]
	s_waitcnt lgkmcnt(0)
	v_add_f64 v[2:3], v[2:3], v[8:9]
	v_add_lshl_u32 v9, v6, v1, 2
	ds_bpermute_b32 v6, v9, v4
	ds_bpermute_b32 v7, v9, v5
	;; [unrolled: 1-line block ×4, first 2 shown]
	s_waitcnt lgkmcnt(2)
	v_add_f64 v[4:5], v[4:5], v[6:7]
	s_waitcnt lgkmcnt(0)
	v_add_f64 v[6:7], v[2:3], v[8:9]
	v_mov_b32_e32 v2, 0x80
	v_lshl_or_b32 v1, v1, 2, v2
	ds_bpermute_b32 v2, v1, v4
	ds_bpermute_b32 v3, v1, v5
	;; [unrolled: 1-line block ×4, first 2 shown]
	v_and_b32_e32 v1, 63, v0
	v_cmp_eq_u32_e64 s[0:1], 0, v1
	s_waitcnt lgkmcnt(2)
	v_add_f64 v[2:3], v[4:5], v[2:3]
	s_waitcnt lgkmcnt(0)
	v_add_f64 v[4:5], v[6:7], v[8:9]
	s_and_saveexec_b64 s[2:3], s[0:1]
; %bb.7:
	v_lshrrev_b32_e32 v1, 2, v0
	v_add_u32_e32 v1, 0, v1
	ds_write2_b64 v1, v[2:3], v[4:5] offset1:1
; %bb.8:
	s_or_b64 exec, exec, s[2:3]
	v_cmp_eq_u32_e64 s[0:1], 0, v0
	s_waitcnt lgkmcnt(0)
	s_barrier
	s_and_saveexec_b64 s[2:3], s[0:1]
	s_cbranch_execz .LBB36_10
; %bb.9:
	v_mov_b32_e32 v1, 0
	ds_read2_b64 v[6:9], v1 offset0:2 offset1:3
	ds_read2_b64 v[10:13], v1 offset0:4 offset1:5
	;; [unrolled: 1-line block ×4, first 2 shown]
	s_waitcnt lgkmcnt(3)
	v_add_f64 v[2:3], v[2:3], v[6:7]
	v_add_f64 v[4:5], v[4:5], v[8:9]
	s_waitcnt lgkmcnt(2)
	v_add_f64 v[2:3], v[2:3], v[10:11]
	v_add_f64 v[6:7], v[4:5], v[12:13]
	s_waitcnt lgkmcnt(1)
	v_add_f64 v[8:9], v[2:3], v[14:15]
	ds_read2_b64 v[2:5], v1 offset0:10 offset1:11
	v_add_f64 v[10:11], v[6:7], v[16:17]
	s_waitcnt lgkmcnt(1)
	v_add_f64 v[12:13], v[8:9], v[18:19]
	ds_read2_b64 v[6:9], v1 offset0:12 offset1:13
	;; [unrolled: 4-line block ×8, first 2 shown]
	v_add_f64 v[12:13], v[14:15], v[12:13]
	s_waitcnt lgkmcnt(1)
	v_add_f64 v[10:11], v[10:11], v[2:3]
	v_add_f64 v[14:15], v[12:13], v[4:5]
	ds_read2_b64 v[2:5], v1 offset0:26 offset1:27
	s_waitcnt lgkmcnt(1)
	v_add_f64 v[16:17], v[10:11], v[6:7]
	ds_read2_b64 v[10:13], v1 offset0:28 offset1:29
	v_add_f64 v[14:15], v[14:15], v[8:9]
	ds_read2_b64 v[6:9], v1 offset0:30 offset1:31
	s_waitcnt lgkmcnt(2)
	v_add_f64 v[2:3], v[16:17], v[2:3]
	v_add_f64 v[4:5], v[14:15], v[4:5]
	s_waitcnt lgkmcnt(1)
	v_add_f64 v[2:3], v[2:3], v[10:11]
	v_add_f64 v[4:5], v[4:5], v[12:13]
	;; [unrolled: 3-line block ×3, first 2 shown]
	ds_write2_b64 v1, v[2:3], v[4:5] offset1:1
.LBB36_10:
	s_or_b64 exec, exec, s[2:3]
	s_waitcnt lgkmcnt(0)
	s_barrier
	s_and_saveexec_b64 s[0:1], vcc
	s_cbranch_execz .LBB36_13
; %bb.11:
	s_mul_i32 s0, s10, s5
	s_mul_hi_u32 s1, s10, s4
	s_add_i32 s0, s1, s0
	s_mul_i32 s1, s11, s4
	s_add_i32 s1, s0, s1
	s_mul_i32 s0, s10, s4
	s_lshl_b64 s[0:1], s[0:1], 4
	s_add_u32 s4, s8, s0
	s_addc_u32 s5, s9, s1
	v_mov_b32_e32 v9, 0
	s_load_dwordx4 s[0:3], s[4:5], 0x0
	ds_read2_b64 v[4:7], v9 offset1:1
	v_lshlrev_b32_e32 v8, 4, v0
	v_add_u32_e32 v1, 0, v8
	v_add_u32_e32 v1, 0x100, v1
	s_waitcnt lgkmcnt(0)
	v_mul_f64 v[2:3], s[2:3], v[6:7]
	v_fma_f64 v[2:3], v[4:5], -s[0:1], -v[2:3]
	v_mul_f64 v[4:5], s[2:3], v[4:5]
	v_fma_f64 v[4:5], s[0:1], v[6:7], -v[4:5]
	s_lshl_b64 s[0:1], s[12:13], 4
	s_lshl_b64 s[2:3], s[14:15], 4
	s_add_u32 s0, s0, s2
	s_addc_u32 s1, s1, s3
	s_add_u32 s0, s6, s0
	s_addc_u32 s1, s7, s1
	v_lshl_add_u64 v[6:7], s[0:1], 0, v[8:9]
	s_mov_b64 s[0:1], 0
	s_mov_b64 s[2:3], 0x4000
.LBB36_12:                              ; =>This Inner Loop Header: Depth=1
	flat_load_dwordx4 v[8:11], v[6:7]
	ds_read2_b64 v[12:15], v1 offset1:1
	v_add_u32_e32 v0, 0x400, v0
	v_cmp_le_i32_e32 vcc, s20, v0
	v_add_u32_e32 v1, 0x4000, v1
	s_or_b64 s[0:1], vcc, s[0:1]
	s_waitcnt lgkmcnt(0)
	v_mul_f64 v[16:17], v[4:5], v[14:15]
	v_mul_f64 v[14:15], v[2:3], v[14:15]
	v_fma_f64 v[16:17], v[2:3], v[12:13], -v[16:17]
	v_fmac_f64_e32 v[14:15], v[4:5], v[12:13]
	s_waitcnt vmcnt(0)
	v_add_f64 v[8:9], v[8:9], v[16:17]
	v_add_f64 v[10:11], v[14:15], v[10:11]
	flat_store_dwordx4 v[6:7], v[8:11]
	v_lshl_add_u64 v[6:7], v[6:7], 0, s[2:3]
	s_andn2_b64 exec, exec, s[0:1]
	s_cbranch_execnz .LBB36_12
.LBB36_13:
	s_endpgm
	.section	.rodata,"a",@progbits
	.p2align	6, 0x0
	.amdhsa_kernel _ZN9rocsolver6v33100L16larf_left_kernelILi1024E19rocblas_complex_numIdEiPKPS3_EEvT1_S7_T2_lS7_lPKT0_lS8_lS7_l
		.amdhsa_group_segment_fixed_size 0
		.amdhsa_private_segment_fixed_size 0
		.amdhsa_kernarg_size 88
		.amdhsa_user_sgpr_count 2
		.amdhsa_user_sgpr_dispatch_ptr 0
		.amdhsa_user_sgpr_queue_ptr 0
		.amdhsa_user_sgpr_kernarg_segment_ptr 1
		.amdhsa_user_sgpr_dispatch_id 0
		.amdhsa_user_sgpr_kernarg_preload_length 0
		.amdhsa_user_sgpr_kernarg_preload_offset 0
		.amdhsa_user_sgpr_private_segment_size 0
		.amdhsa_uses_dynamic_stack 0
		.amdhsa_enable_private_segment 0
		.amdhsa_system_sgpr_workgroup_id_x 1
		.amdhsa_system_sgpr_workgroup_id_y 1
		.amdhsa_system_sgpr_workgroup_id_z 1
		.amdhsa_system_sgpr_workgroup_info 0
		.amdhsa_system_vgpr_workitem_id 0
		.amdhsa_next_free_vgpr 22
		.amdhsa_next_free_sgpr 28
		.amdhsa_accum_offset 24
		.amdhsa_reserve_vcc 1
		.amdhsa_float_round_mode_32 0
		.amdhsa_float_round_mode_16_64 0
		.amdhsa_float_denorm_mode_32 3
		.amdhsa_float_denorm_mode_16_64 3
		.amdhsa_dx10_clamp 1
		.amdhsa_ieee_mode 1
		.amdhsa_fp16_overflow 0
		.amdhsa_tg_split 0
		.amdhsa_exception_fp_ieee_invalid_op 0
		.amdhsa_exception_fp_denorm_src 0
		.amdhsa_exception_fp_ieee_div_zero 0
		.amdhsa_exception_fp_ieee_overflow 0
		.amdhsa_exception_fp_ieee_underflow 0
		.amdhsa_exception_fp_ieee_inexact 0
		.amdhsa_exception_int_div_zero 0
	.end_amdhsa_kernel
	.section	.text._ZN9rocsolver6v33100L16larf_left_kernelILi1024E19rocblas_complex_numIdEiPKPS3_EEvT1_S7_T2_lS7_lPKT0_lS8_lS7_l,"axG",@progbits,_ZN9rocsolver6v33100L16larf_left_kernelILi1024E19rocblas_complex_numIdEiPKPS3_EEvT1_S7_T2_lS7_lPKT0_lS8_lS7_l,comdat
.Lfunc_end36:
	.size	_ZN9rocsolver6v33100L16larf_left_kernelILi1024E19rocblas_complex_numIdEiPKPS3_EEvT1_S7_T2_lS7_lPKT0_lS8_lS7_l, .Lfunc_end36-_ZN9rocsolver6v33100L16larf_left_kernelILi1024E19rocblas_complex_numIdEiPKPS3_EEvT1_S7_T2_lS7_lPKT0_lS8_lS7_l
                                        ; -- End function
	.set _ZN9rocsolver6v33100L16larf_left_kernelILi1024E19rocblas_complex_numIdEiPKPS3_EEvT1_S7_T2_lS7_lPKT0_lS8_lS7_l.num_vgpr, 22
	.set _ZN9rocsolver6v33100L16larf_left_kernelILi1024E19rocblas_complex_numIdEiPKPS3_EEvT1_S7_T2_lS7_lPKT0_lS8_lS7_l.num_agpr, 0
	.set _ZN9rocsolver6v33100L16larf_left_kernelILi1024E19rocblas_complex_numIdEiPKPS3_EEvT1_S7_T2_lS7_lPKT0_lS8_lS7_l.numbered_sgpr, 28
	.set _ZN9rocsolver6v33100L16larf_left_kernelILi1024E19rocblas_complex_numIdEiPKPS3_EEvT1_S7_T2_lS7_lPKT0_lS8_lS7_l.num_named_barrier, 0
	.set _ZN9rocsolver6v33100L16larf_left_kernelILi1024E19rocblas_complex_numIdEiPKPS3_EEvT1_S7_T2_lS7_lPKT0_lS8_lS7_l.private_seg_size, 0
	.set _ZN9rocsolver6v33100L16larf_left_kernelILi1024E19rocblas_complex_numIdEiPKPS3_EEvT1_S7_T2_lS7_lPKT0_lS8_lS7_l.uses_vcc, 1
	.set _ZN9rocsolver6v33100L16larf_left_kernelILi1024E19rocblas_complex_numIdEiPKPS3_EEvT1_S7_T2_lS7_lPKT0_lS8_lS7_l.uses_flat_scratch, 0
	.set _ZN9rocsolver6v33100L16larf_left_kernelILi1024E19rocblas_complex_numIdEiPKPS3_EEvT1_S7_T2_lS7_lPKT0_lS8_lS7_l.has_dyn_sized_stack, 0
	.set _ZN9rocsolver6v33100L16larf_left_kernelILi1024E19rocblas_complex_numIdEiPKPS3_EEvT1_S7_T2_lS7_lPKT0_lS8_lS7_l.has_recursion, 0
	.set _ZN9rocsolver6v33100L16larf_left_kernelILi1024E19rocblas_complex_numIdEiPKPS3_EEvT1_S7_T2_lS7_lPKT0_lS8_lS7_l.has_indirect_call, 0
	.section	.AMDGPU.csdata,"",@progbits
; Kernel info:
; codeLenInByte = 1744
; TotalNumSgprs: 34
; NumVgprs: 22
; NumAgprs: 0
; TotalNumVgprs: 22
; ScratchSize: 0
; MemoryBound: 0
; FloatMode: 240
; IeeeMode: 1
; LDSByteSize: 0 bytes/workgroup (compile time only)
; SGPRBlocks: 4
; VGPRBlocks: 2
; NumSGPRsForWavesPerEU: 34
; NumVGPRsForWavesPerEU: 22
; AccumOffset: 24
; Occupancy: 8
; WaveLimiterHint : 0
; COMPUTE_PGM_RSRC2:SCRATCH_EN: 0
; COMPUTE_PGM_RSRC2:USER_SGPR: 2
; COMPUTE_PGM_RSRC2:TRAP_HANDLER: 0
; COMPUTE_PGM_RSRC2:TGID_X_EN: 1
; COMPUTE_PGM_RSRC2:TGID_Y_EN: 1
; COMPUTE_PGM_RSRC2:TGID_Z_EN: 1
; COMPUTE_PGM_RSRC2:TIDIG_COMP_CNT: 0
; COMPUTE_PGM_RSRC3_GFX90A:ACCUM_OFFSET: 5
; COMPUTE_PGM_RSRC3_GFX90A:TG_SPLIT: 0
	.section	.text._ZN9rocsolver6v33100L17larf_right_kernelILi1024E19rocblas_complex_numIdEiPKPS3_EEvT1_S7_T2_lS7_lPKT0_lS8_lS7_l,"axG",@progbits,_ZN9rocsolver6v33100L17larf_right_kernelILi1024E19rocblas_complex_numIdEiPKPS3_EEvT1_S7_T2_lS7_lPKT0_lS8_lS7_l,comdat
	.globl	_ZN9rocsolver6v33100L17larf_right_kernelILi1024E19rocblas_complex_numIdEiPKPS3_EEvT1_S7_T2_lS7_lPKT0_lS8_lS7_l ; -- Begin function _ZN9rocsolver6v33100L17larf_right_kernelILi1024E19rocblas_complex_numIdEiPKPS3_EEvT1_S7_T2_lS7_lPKT0_lS8_lS7_l
	.p2align	8
	.type	_ZN9rocsolver6v33100L17larf_right_kernelILi1024E19rocblas_complex_numIdEiPKPS3_EEvT1_S7_T2_lS7_lPKT0_lS8_lS7_l,@function
_ZN9rocsolver6v33100L17larf_right_kernelILi1024E19rocblas_complex_numIdEiPKPS3_EEvT1_S7_T2_lS7_lPKT0_lS8_lS7_l: ; @_ZN9rocsolver6v33100L17larf_right_kernelILi1024E19rocblas_complex_numIdEiPKPS3_EEvT1_S7_T2_lS7_lPKT0_lS8_lS7_l
; %bb.0:
	s_load_dwordx8 s[8:15], s[0:1], 0x28
	s_load_dword s22, s[0:1], 0x4
	s_load_dword s6, s[0:1], 0x48
	s_ashr_i32 s5, s4, 31
	s_lshl_b64 s[18:19], s[4:5], 3
	s_waitcnt lgkmcnt(0)
	s_add_u32 s12, s12, s18
	s_addc_u32 s13, s13, s19
	s_load_dwordx2 s[12:13], s[12:13], 0x0
	s_mov_b32 s2, s3
	s_ashr_i32 s3, s3, 31
	v_cmp_gt_i32_e32 vcc, s22, v0
	v_mov_b64_e32 v[2:3], 0
	v_lshl_add_u32 v1, v0, 4, 0
	v_mov_b64_e32 v[4:5], 0
	s_and_saveexec_b64 s[16:17], vcc
	s_cbranch_execz .LBB37_6
; %bb.1:
	s_load_dword s20, s[0:1], 0x18
	s_load_dwordx4 s[24:27], s[0:1], 0x8
	s_sub_i32 s0, 1, s22
	v_add_u32_e32 v8, 0x100, v1
	v_mov_b32_e32 v4, v8
	s_waitcnt lgkmcnt(0)
	s_ashr_i32 s21, s20, 31
	s_mul_i32 s7, s20, s0
	v_cmp_lt_i64_e64 s[0:1], s[20:21], 1
	s_and_b64 s[0:1], s[0:1], exec
	s_cselect_b32 s0, s7, 0
	s_ashr_i32 s1, s0, 31
	s_add_u32 s18, s24, s18
	s_addc_u32 s19, s25, s19
	s_load_dwordx2 s[18:19], s[18:19], 0x0
	v_mad_i64_i32 v[2:3], s[24:25], s20, v0, 0
	s_lshl_b64 s[24:25], s[26:27], 4
	s_lshl_b64 s[0:1], s[0:1], 4
	s_waitcnt lgkmcnt(0)
	s_add_u32 s0, s18, s0
	s_addc_u32 s1, s19, s1
	s_add_u32 s0, s0, s24
	s_addc_u32 s1, s1, s25
	v_lshl_add_u64 v[2:3], v[2:3], 4, s[0:1]
	s_lshl_b64 s[20:21], s[20:21], 14
	s_mov_b64 s[18:19], 0
	v_mov_b32_e32 v5, v0
.LBB37_2:                               ; =>This Inner Loop Header: Depth=1
	flat_load_dwordx4 v[10:13], v[2:3]
	v_add_u32_e32 v5, 0x400, v5
	v_cmp_le_i32_e64 s[0:1], s22, v5
	v_lshl_add_u64 v[2:3], v[2:3], 0, s[20:21]
	s_or_b64 s[18:19], s[0:1], s[18:19]
	s_waitcnt vmcnt(0) lgkmcnt(0)
	ds_write2_b64 v4, v[10:11], v[12:13] offset1:1
	v_add_u32_e32 v4, 0x4000, v4
	s_andn2_b64 exec, exec, s[18:19]
	s_cbranch_execnz .LBB37_2
; %bb.3:
	s_or_b64 exec, exec, s[18:19]
	v_mad_i64_i32 v[2:3], s[0:1], s6, v0, 0
	s_ashr_i32 s7, s6, 31
	s_lshl_b64 s[0:1], s[14:15], 4
	s_lshl_b64 s[18:19], s[2:3], 4
	s_add_u32 s18, s12, s18
	s_addc_u32 s19, s13, s19
	s_add_u32 s0, s18, s0
	s_addc_u32 s1, s19, s1
	v_lshl_add_u64 v[6:7], v[2:3], 4, s[0:1]
	s_lshl_b64 s[18:19], s[6:7], 14
	v_mov_b64_e32 v[2:3], 0
	s_mov_b64 s[20:21], 0
	v_mov_b32_e32 v9, v0
	v_mov_b64_e32 v[4:5], 0
.LBB37_4:                               ; =>This Inner Loop Header: Depth=1
	flat_load_dwordx4 v[10:13], v[6:7]
	ds_read2_b64 v[14:17], v8 offset1:1
	v_add_u32_e32 v9, 0x400, v9
	v_cmp_le_i32_e64 s[0:1], s22, v9
	v_add_u32_e32 v8, 0x4000, v8
	v_lshl_add_u64 v[6:7], v[6:7], 0, s[18:19]
	s_or_b64 s[20:21], s[0:1], s[20:21]
	s_waitcnt vmcnt(0) lgkmcnt(0)
	v_mul_f64 v[18:19], v[16:17], v[12:13]
	v_mul_f64 v[12:13], v[14:15], v[12:13]
	v_fma_f64 v[14:15], v[14:15], v[10:11], -v[18:19]
	v_fmac_f64_e32 v[12:13], v[16:17], v[10:11]
	v_add_f64 v[4:5], v[4:5], v[14:15]
	v_add_f64 v[2:3], v[2:3], v[12:13]
	s_andn2_b64 exec, exec, s[20:21]
	s_cbranch_execnz .LBB37_4
; %bb.5:
	s_or_b64 exec, exec, s[20:21]
.LBB37_6:
	s_or_b64 exec, exec, s[16:17]
	v_mbcnt_lo_u32_b32 v6, -1, 0
	v_mbcnt_hi_u32_b32 v10, -1, v6
	v_and_b32_e32 v11, 63, v10
	v_cmp_ne_u32_e64 s[0:1], 63, v11
	s_nop 1
	v_addc_co_u32_e64 v6, s[0:1], 0, v10, s[0:1]
	v_lshlrev_b32_e32 v9, 2, v6
	ds_bpermute_b32 v6, v9, v4
	ds_bpermute_b32 v7, v9, v5
	;; [unrolled: 1-line block ×4, first 2 shown]
	v_cmp_gt_u32_e64 s[0:1], 62, v11
	s_waitcnt lgkmcnt(0)
	v_add_f64 v[4:5], v[4:5], v[6:7]
	v_cndmask_b32_e64 v6, 0, 2, s[0:1]
	v_add_f64 v[2:3], v[2:3], v[8:9]
	v_add_lshl_u32 v9, v6, v10, 2
	ds_bpermute_b32 v6, v9, v4
	ds_bpermute_b32 v7, v9, v5
	ds_bpermute_b32 v8, v9, v2
	ds_bpermute_b32 v9, v9, v3
	v_cmp_gt_u32_e64 s[0:1], 60, v11
	s_waitcnt lgkmcnt(2)
	v_add_f64 v[4:5], v[4:5], v[6:7]
	v_cndmask_b32_e64 v6, 0, 4, s[0:1]
	s_waitcnt lgkmcnt(0)
	v_add_f64 v[2:3], v[2:3], v[8:9]
	v_add_lshl_u32 v9, v6, v10, 2
	ds_bpermute_b32 v6, v9, v4
	ds_bpermute_b32 v7, v9, v5
	ds_bpermute_b32 v8, v9, v2
	ds_bpermute_b32 v9, v9, v3
	v_cmp_gt_u32_e64 s[0:1], 56, v11
	s_waitcnt lgkmcnt(2)
	v_add_f64 v[4:5], v[4:5], v[6:7]
	v_cndmask_b32_e64 v6, 0, 8, s[0:1]
	s_waitcnt lgkmcnt(0)
	;; [unrolled: 11-line block ×3, first 2 shown]
	v_add_f64 v[2:3], v[2:3], v[8:9]
	v_add_lshl_u32 v9, v6, v10, 2
	ds_bpermute_b32 v6, v9, v4
	ds_bpermute_b32 v7, v9, v5
	;; [unrolled: 1-line block ×4, first 2 shown]
	s_waitcnt lgkmcnt(2)
	v_add_f64 v[4:5], v[4:5], v[6:7]
	s_waitcnt lgkmcnt(0)
	v_add_f64 v[6:7], v[2:3], v[8:9]
	v_mov_b32_e32 v2, 0x80
	v_lshl_or_b32 v9, v10, 2, v2
	ds_bpermute_b32 v2, v9, v4
	ds_bpermute_b32 v3, v9, v5
	;; [unrolled: 1-line block ×4, first 2 shown]
	s_waitcnt lgkmcnt(2)
	v_add_f64 v[2:3], v[4:5], v[2:3]
	s_waitcnt lgkmcnt(0)
	v_add_f64 v[4:5], v[6:7], v[8:9]
	v_and_b32_e32 v6, 63, v0
	v_cmp_eq_u32_e64 s[0:1], 0, v6
	s_and_saveexec_b64 s[16:17], s[0:1]
; %bb.7:
	v_lshrrev_b32_e32 v6, 2, v0
	v_add_u32_e32 v6, 0, v6
	ds_write2_b64 v6, v[2:3], v[4:5] offset1:1
; %bb.8:
	s_or_b64 exec, exec, s[16:17]
	v_cmp_eq_u32_e64 s[0:1], 0, v0
	s_waitcnt lgkmcnt(0)
	s_barrier
	s_and_saveexec_b64 s[16:17], s[0:1]
	s_cbranch_execz .LBB37_10
; %bb.9:
	v_mov_b32_e32 v22, 0
	ds_read2_b64 v[6:9], v22 offset0:2 offset1:3
	ds_read2_b64 v[10:13], v22 offset0:4 offset1:5
	;; [unrolled: 1-line block ×4, first 2 shown]
	s_waitcnt lgkmcnt(3)
	v_add_f64 v[2:3], v[2:3], v[6:7]
	v_add_f64 v[4:5], v[4:5], v[8:9]
	s_waitcnt lgkmcnt(2)
	v_add_f64 v[2:3], v[2:3], v[10:11]
	v_add_f64 v[6:7], v[4:5], v[12:13]
	s_waitcnt lgkmcnt(1)
	v_add_f64 v[8:9], v[2:3], v[14:15]
	ds_read2_b64 v[2:5], v22 offset0:10 offset1:11
	v_add_f64 v[10:11], v[6:7], v[16:17]
	s_waitcnt lgkmcnt(1)
	v_add_f64 v[12:13], v[8:9], v[18:19]
	ds_read2_b64 v[6:9], v22 offset0:12 offset1:13
	;; [unrolled: 4-line block ×8, first 2 shown]
	v_add_f64 v[12:13], v[14:15], v[12:13]
	s_waitcnt lgkmcnt(1)
	v_add_f64 v[10:11], v[10:11], v[2:3]
	v_add_f64 v[14:15], v[12:13], v[4:5]
	ds_read2_b64 v[2:5], v22 offset0:26 offset1:27
	s_waitcnt lgkmcnt(1)
	v_add_f64 v[16:17], v[10:11], v[6:7]
	ds_read2_b64 v[10:13], v22 offset0:28 offset1:29
	v_add_f64 v[14:15], v[14:15], v[8:9]
	ds_read2_b64 v[6:9], v22 offset0:30 offset1:31
	s_waitcnt lgkmcnt(2)
	v_add_f64 v[2:3], v[16:17], v[2:3]
	v_add_f64 v[4:5], v[14:15], v[4:5]
	s_waitcnt lgkmcnt(1)
	v_add_f64 v[2:3], v[2:3], v[10:11]
	v_add_f64 v[4:5], v[4:5], v[12:13]
	;; [unrolled: 3-line block ×3, first 2 shown]
	ds_write2_b64 v22, v[2:3], v[4:5] offset1:1
.LBB37_10:
	s_or_b64 exec, exec, s[16:17]
	s_waitcnt lgkmcnt(0)
	s_barrier
	s_and_saveexec_b64 s[0:1], vcc
	s_cbranch_execz .LBB37_13
; %bb.11:
	s_mul_i32 s0, s10, s5
	s_mul_hi_u32 s1, s10, s4
	s_add_i32 s0, s1, s0
	s_mul_i32 s1, s11, s4
	s_add_i32 s1, s0, s1
	s_mul_i32 s0, s10, s4
	s_lshl_b64 s[0:1], s[0:1], 4
	s_add_u32 s0, s8, s0
	s_addc_u32 s1, s9, s1
	v_mov_b32_e32 v2, 0
	s_load_dwordx4 s[8:11], s[0:1], 0x0
	ds_read2_b64 v[4:7], v2 offset1:1
	s_ashr_i32 s7, s6, 31
	s_lshl_b64 s[2:3], s[2:3], 4
	v_add_u32_e32 v1, 0x100, v1
	s_waitcnt lgkmcnt(0)
	v_mul_f64 v[2:3], s[8:9], v[4:5]
	v_fma_f64 v[2:3], s[10:11], v[6:7], -v[2:3]
	v_mul_f64 v[6:7], s[8:9], v[6:7]
	v_fma_f64 v[4:5], v[4:5], -s[10:11], -v[6:7]
	v_mad_i64_i32 v[6:7], s[0:1], s6, v0, 0
	s_lshl_b64 s[0:1], s[14:15], 4
	s_add_u32 s2, s12, s2
	s_addc_u32 s3, s13, s3
	s_add_u32 s0, s2, s0
	s_addc_u32 s1, s3, s1
	v_lshl_add_u64 v[6:7], v[6:7], 4, s[0:1]
	s_lshl_b64 s[0:1], s[6:7], 14
	s_mov_b64 s[2:3], 0
.LBB37_12:                              ; =>This Inner Loop Header: Depth=1
	flat_load_dwordx4 v[8:11], v[6:7]
	ds_read2_b64 v[12:15], v1 offset1:1
	v_add_u32_e32 v0, 0x400, v0
	v_cmp_le_i32_e32 vcc, s22, v0
	v_add_u32_e32 v1, 0x4000, v1
	s_or_b64 s[2:3], vcc, s[2:3]
	s_waitcnt lgkmcnt(0)
	v_mul_f64 v[16:17], v[4:5], v[14:15]
	v_mul_f64 v[14:15], v[2:3], v[14:15]
	v_fmac_f64_e32 v[16:17], v[2:3], v[12:13]
	v_fma_f64 v[12:13], v[4:5], v[12:13], -v[14:15]
	s_waitcnt vmcnt(0)
	v_add_f64 v[8:9], v[8:9], v[16:17]
	v_add_f64 v[10:11], v[12:13], v[10:11]
	flat_store_dwordx4 v[6:7], v[8:11]
	v_lshl_add_u64 v[6:7], v[6:7], 0, s[0:1]
	s_andn2_b64 exec, exec, s[2:3]
	s_cbranch_execnz .LBB37_12
.LBB37_13:
	s_endpgm
	.section	.rodata,"a",@progbits
	.p2align	6, 0x0
	.amdhsa_kernel _ZN9rocsolver6v33100L17larf_right_kernelILi1024E19rocblas_complex_numIdEiPKPS3_EEvT1_S7_T2_lS7_lPKT0_lS8_lS7_l
		.amdhsa_group_segment_fixed_size 0
		.amdhsa_private_segment_fixed_size 0
		.amdhsa_kernarg_size 88
		.amdhsa_user_sgpr_count 2
		.amdhsa_user_sgpr_dispatch_ptr 0
		.amdhsa_user_sgpr_queue_ptr 0
		.amdhsa_user_sgpr_kernarg_segment_ptr 1
		.amdhsa_user_sgpr_dispatch_id 0
		.amdhsa_user_sgpr_kernarg_preload_length 0
		.amdhsa_user_sgpr_kernarg_preload_offset 0
		.amdhsa_user_sgpr_private_segment_size 0
		.amdhsa_uses_dynamic_stack 0
		.amdhsa_enable_private_segment 0
		.amdhsa_system_sgpr_workgroup_id_x 1
		.amdhsa_system_sgpr_workgroup_id_y 1
		.amdhsa_system_sgpr_workgroup_id_z 1
		.amdhsa_system_sgpr_workgroup_info 0
		.amdhsa_system_vgpr_workitem_id 0
		.amdhsa_next_free_vgpr 23
		.amdhsa_next_free_sgpr 28
		.amdhsa_accum_offset 24
		.amdhsa_reserve_vcc 1
		.amdhsa_float_round_mode_32 0
		.amdhsa_float_round_mode_16_64 0
		.amdhsa_float_denorm_mode_32 3
		.amdhsa_float_denorm_mode_16_64 3
		.amdhsa_dx10_clamp 1
		.amdhsa_ieee_mode 1
		.amdhsa_fp16_overflow 0
		.amdhsa_tg_split 0
		.amdhsa_exception_fp_ieee_invalid_op 0
		.amdhsa_exception_fp_denorm_src 0
		.amdhsa_exception_fp_ieee_div_zero 0
		.amdhsa_exception_fp_ieee_overflow 0
		.amdhsa_exception_fp_ieee_underflow 0
		.amdhsa_exception_fp_ieee_inexact 0
		.amdhsa_exception_int_div_zero 0
	.end_amdhsa_kernel
	.section	.text._ZN9rocsolver6v33100L17larf_right_kernelILi1024E19rocblas_complex_numIdEiPKPS3_EEvT1_S7_T2_lS7_lPKT0_lS8_lS7_l,"axG",@progbits,_ZN9rocsolver6v33100L17larf_right_kernelILi1024E19rocblas_complex_numIdEiPKPS3_EEvT1_S7_T2_lS7_lPKT0_lS8_lS7_l,comdat
.Lfunc_end37:
	.size	_ZN9rocsolver6v33100L17larf_right_kernelILi1024E19rocblas_complex_numIdEiPKPS3_EEvT1_S7_T2_lS7_lPKT0_lS8_lS7_l, .Lfunc_end37-_ZN9rocsolver6v33100L17larf_right_kernelILi1024E19rocblas_complex_numIdEiPKPS3_EEvT1_S7_T2_lS7_lPKT0_lS8_lS7_l
                                        ; -- End function
	.set _ZN9rocsolver6v33100L17larf_right_kernelILi1024E19rocblas_complex_numIdEiPKPS3_EEvT1_S7_T2_lS7_lPKT0_lS8_lS7_l.num_vgpr, 23
	.set _ZN9rocsolver6v33100L17larf_right_kernelILi1024E19rocblas_complex_numIdEiPKPS3_EEvT1_S7_T2_lS7_lPKT0_lS8_lS7_l.num_agpr, 0
	.set _ZN9rocsolver6v33100L17larf_right_kernelILi1024E19rocblas_complex_numIdEiPKPS3_EEvT1_S7_T2_lS7_lPKT0_lS8_lS7_l.numbered_sgpr, 28
	.set _ZN9rocsolver6v33100L17larf_right_kernelILi1024E19rocblas_complex_numIdEiPKPS3_EEvT1_S7_T2_lS7_lPKT0_lS8_lS7_l.num_named_barrier, 0
	.set _ZN9rocsolver6v33100L17larf_right_kernelILi1024E19rocblas_complex_numIdEiPKPS3_EEvT1_S7_T2_lS7_lPKT0_lS8_lS7_l.private_seg_size, 0
	.set _ZN9rocsolver6v33100L17larf_right_kernelILi1024E19rocblas_complex_numIdEiPKPS3_EEvT1_S7_T2_lS7_lPKT0_lS8_lS7_l.uses_vcc, 1
	.set _ZN9rocsolver6v33100L17larf_right_kernelILi1024E19rocblas_complex_numIdEiPKPS3_EEvT1_S7_T2_lS7_lPKT0_lS8_lS7_l.uses_flat_scratch, 0
	.set _ZN9rocsolver6v33100L17larf_right_kernelILi1024E19rocblas_complex_numIdEiPKPS3_EEvT1_S7_T2_lS7_lPKT0_lS8_lS7_l.has_dyn_sized_stack, 0
	.set _ZN9rocsolver6v33100L17larf_right_kernelILi1024E19rocblas_complex_numIdEiPKPS3_EEvT1_S7_T2_lS7_lPKT0_lS8_lS7_l.has_recursion, 0
	.set _ZN9rocsolver6v33100L17larf_right_kernelILi1024E19rocblas_complex_numIdEiPKPS3_EEvT1_S7_T2_lS7_lPKT0_lS8_lS7_l.has_indirect_call, 0
	.section	.AMDGPU.csdata,"",@progbits
; Kernel info:
; codeLenInByte = 1744
; TotalNumSgprs: 34
; NumVgprs: 23
; NumAgprs: 0
; TotalNumVgprs: 23
; ScratchSize: 0
; MemoryBound: 0
; FloatMode: 240
; IeeeMode: 1
; LDSByteSize: 0 bytes/workgroup (compile time only)
; SGPRBlocks: 4
; VGPRBlocks: 2
; NumSGPRsForWavesPerEU: 34
; NumVGPRsForWavesPerEU: 23
; AccumOffset: 24
; Occupancy: 8
; WaveLimiterHint : 0
; COMPUTE_PGM_RSRC2:SCRATCH_EN: 0
; COMPUTE_PGM_RSRC2:USER_SGPR: 2
; COMPUTE_PGM_RSRC2:TRAP_HANDLER: 0
; COMPUTE_PGM_RSRC2:TGID_X_EN: 1
; COMPUTE_PGM_RSRC2:TGID_Y_EN: 1
; COMPUTE_PGM_RSRC2:TGID_Z_EN: 1
; COMPUTE_PGM_RSRC2:TIDIG_COMP_CNT: 0
; COMPUTE_PGM_RSRC3_GFX90A:ACCUM_OFFSET: 5
; COMPUTE_PGM_RSRC3_GFX90A:TG_SPLIT: 0
	.section	.text._ZN9rocsolver6v33100L9get_arrayI19rocblas_complex_numIdEiEEvPPT_S5_lT0_,"axG",@progbits,_ZN9rocsolver6v33100L9get_arrayI19rocblas_complex_numIdEiEEvPPT_S5_lT0_,comdat
	.globl	_ZN9rocsolver6v33100L9get_arrayI19rocblas_complex_numIdEiEEvPPT_S5_lT0_ ; -- Begin function _ZN9rocsolver6v33100L9get_arrayI19rocblas_complex_numIdEiEEvPPT_S5_lT0_
	.p2align	8
	.type	_ZN9rocsolver6v33100L9get_arrayI19rocblas_complex_numIdEiEEvPPT_S5_lT0_,@function
_ZN9rocsolver6v33100L9get_arrayI19rocblas_complex_numIdEiEEvPPT_S5_lT0_: ; @_ZN9rocsolver6v33100L9get_arrayI19rocblas_complex_numIdEiEEvPPT_S5_lT0_
; %bb.0:
	s_load_dword s3, s[0:1], 0x2c
	s_load_dword s4, s[0:1], 0x18
	s_waitcnt lgkmcnt(0)
	s_and_b32 s3, s3, 0xffff
	s_mul_i32 s2, s2, s3
	v_add_u32_e32 v0, s2, v0
	v_cmp_gt_i32_e32 vcc, s4, v0
	s_and_saveexec_b64 s[2:3], vcc
	s_cbranch_execz .LBB38_2
; %bb.1:
	s_load_dwordx4 s[4:7], s[0:1], 0x0
	s_load_dwordx2 s[2:3], s[0:1], 0x10
	v_ashrrev_i32_e32 v1, 31, v0
	s_waitcnt lgkmcnt(0)
	v_mov_b32_e32 v2, s4
	v_mul_lo_u32 v8, s3, v0
	v_mul_lo_u32 v9, s2, v1
	v_mad_u64_u32 v[6:7], s[0:1], s2, v0, 0
	v_mov_b32_e32 v3, s5
	v_mov_b32_e32 v4, s6
	v_mov_b32_e32 v5, s7
	v_add3_u32 v7, v7, v9, v8
	v_lshl_add_u64 v[4:5], v[6:7], 4, v[4:5]
	v_lshl_add_u64 v[0:1], v[0:1], 3, v[2:3]
	global_store_dwordx2 v[0:1], v[4:5], off
.LBB38_2:
	s_endpgm
	.section	.rodata,"a",@progbits
	.p2align	6, 0x0
	.amdhsa_kernel _ZN9rocsolver6v33100L9get_arrayI19rocblas_complex_numIdEiEEvPPT_S5_lT0_
		.amdhsa_group_segment_fixed_size 0
		.amdhsa_private_segment_fixed_size 0
		.amdhsa_kernarg_size 288
		.amdhsa_user_sgpr_count 2
		.amdhsa_user_sgpr_dispatch_ptr 0
		.amdhsa_user_sgpr_queue_ptr 0
		.amdhsa_user_sgpr_kernarg_segment_ptr 1
		.amdhsa_user_sgpr_dispatch_id 0
		.amdhsa_user_sgpr_kernarg_preload_length 0
		.amdhsa_user_sgpr_kernarg_preload_offset 0
		.amdhsa_user_sgpr_private_segment_size 0
		.amdhsa_uses_dynamic_stack 0
		.amdhsa_enable_private_segment 0
		.amdhsa_system_sgpr_workgroup_id_x 1
		.amdhsa_system_sgpr_workgroup_id_y 0
		.amdhsa_system_sgpr_workgroup_id_z 0
		.amdhsa_system_sgpr_workgroup_info 0
		.amdhsa_system_vgpr_workitem_id 0
		.amdhsa_next_free_vgpr 10
		.amdhsa_next_free_sgpr 8
		.amdhsa_accum_offset 12
		.amdhsa_reserve_vcc 1
		.amdhsa_float_round_mode_32 0
		.amdhsa_float_round_mode_16_64 0
		.amdhsa_float_denorm_mode_32 3
		.amdhsa_float_denorm_mode_16_64 3
		.amdhsa_dx10_clamp 1
		.amdhsa_ieee_mode 1
		.amdhsa_fp16_overflow 0
		.amdhsa_tg_split 0
		.amdhsa_exception_fp_ieee_invalid_op 0
		.amdhsa_exception_fp_denorm_src 0
		.amdhsa_exception_fp_ieee_div_zero 0
		.amdhsa_exception_fp_ieee_overflow 0
		.amdhsa_exception_fp_ieee_underflow 0
		.amdhsa_exception_fp_ieee_inexact 0
		.amdhsa_exception_int_div_zero 0
	.end_amdhsa_kernel
	.section	.text._ZN9rocsolver6v33100L9get_arrayI19rocblas_complex_numIdEiEEvPPT_S5_lT0_,"axG",@progbits,_ZN9rocsolver6v33100L9get_arrayI19rocblas_complex_numIdEiEEvPPT_S5_lT0_,comdat
.Lfunc_end38:
	.size	_ZN9rocsolver6v33100L9get_arrayI19rocblas_complex_numIdEiEEvPPT_S5_lT0_, .Lfunc_end38-_ZN9rocsolver6v33100L9get_arrayI19rocblas_complex_numIdEiEEvPPT_S5_lT0_
                                        ; -- End function
	.set _ZN9rocsolver6v33100L9get_arrayI19rocblas_complex_numIdEiEEvPPT_S5_lT0_.num_vgpr, 10
	.set _ZN9rocsolver6v33100L9get_arrayI19rocblas_complex_numIdEiEEvPPT_S5_lT0_.num_agpr, 0
	.set _ZN9rocsolver6v33100L9get_arrayI19rocblas_complex_numIdEiEEvPPT_S5_lT0_.numbered_sgpr, 8
	.set _ZN9rocsolver6v33100L9get_arrayI19rocblas_complex_numIdEiEEvPPT_S5_lT0_.num_named_barrier, 0
	.set _ZN9rocsolver6v33100L9get_arrayI19rocblas_complex_numIdEiEEvPPT_S5_lT0_.private_seg_size, 0
	.set _ZN9rocsolver6v33100L9get_arrayI19rocblas_complex_numIdEiEEvPPT_S5_lT0_.uses_vcc, 1
	.set _ZN9rocsolver6v33100L9get_arrayI19rocblas_complex_numIdEiEEvPPT_S5_lT0_.uses_flat_scratch, 0
	.set _ZN9rocsolver6v33100L9get_arrayI19rocblas_complex_numIdEiEEvPPT_S5_lT0_.has_dyn_sized_stack, 0
	.set _ZN9rocsolver6v33100L9get_arrayI19rocblas_complex_numIdEiEEvPPT_S5_lT0_.has_recursion, 0
	.set _ZN9rocsolver6v33100L9get_arrayI19rocblas_complex_numIdEiEEvPPT_S5_lT0_.has_indirect_call, 0
	.section	.AMDGPU.csdata,"",@progbits
; Kernel info:
; codeLenInByte = 148
; TotalNumSgprs: 14
; NumVgprs: 10
; NumAgprs: 0
; TotalNumVgprs: 10
; ScratchSize: 0
; MemoryBound: 0
; FloatMode: 240
; IeeeMode: 1
; LDSByteSize: 0 bytes/workgroup (compile time only)
; SGPRBlocks: 1
; VGPRBlocks: 1
; NumSGPRsForWavesPerEU: 14
; NumVGPRsForWavesPerEU: 10
; AccumOffset: 12
; Occupancy: 8
; WaveLimiterHint : 0
; COMPUTE_PGM_RSRC2:SCRATCH_EN: 0
; COMPUTE_PGM_RSRC2:USER_SGPR: 2
; COMPUTE_PGM_RSRC2:TRAP_HANDLER: 0
; COMPUTE_PGM_RSRC2:TGID_X_EN: 1
; COMPUTE_PGM_RSRC2:TGID_Y_EN: 0
; COMPUTE_PGM_RSRC2:TGID_Z_EN: 0
; COMPUTE_PGM_RSRC2:TIDIG_COMP_CNT: 0
; COMPUTE_PGM_RSRC3_GFX90A:ACCUM_OFFSET: 2
; COMPUTE_PGM_RSRC3_GFX90A:TG_SPLIT: 0
	.section	.text._ZN9rocsolver6v33100L12restore_diagI19rocblas_complex_numIdEidPKPS3_EEvPT1_llT2_lT0_lSA_,"axG",@progbits,_ZN9rocsolver6v33100L12restore_diagI19rocblas_complex_numIdEidPKPS3_EEvPT1_llT2_lT0_lSA_,comdat
	.globl	_ZN9rocsolver6v33100L12restore_diagI19rocblas_complex_numIdEidPKPS3_EEvPT1_llT2_lT0_lSA_ ; -- Begin function _ZN9rocsolver6v33100L12restore_diagI19rocblas_complex_numIdEidPKPS3_EEvPT1_llT2_lT0_lSA_
	.p2align	8
	.type	_ZN9rocsolver6v33100L12restore_diagI19rocblas_complex_numIdEidPKPS3_EEvPT1_llT2_lT0_lSA_,@function
_ZN9rocsolver6v33100L12restore_diagI19rocblas_complex_numIdEidPKPS3_EEvPT1_llT2_lT0_lSA_: ; @_ZN9rocsolver6v33100L12restore_diagI19rocblas_complex_numIdEidPKPS3_EEvPT1_llT2_lT0_lSA_
; %bb.0:
	s_load_dword s4, s[0:1], 0x4c
	s_load_dword s5, s[0:1], 0x38
	v_bfe_u32 v0, v0, 10, 10
	s_waitcnt lgkmcnt(0)
	s_lshr_b32 s4, s4, 16
	s_mul_i32 s3, s3, s4
	v_add_u32_e32 v0, s3, v0
	v_cmp_gt_i32_e32 vcc, s5, v0
	s_and_saveexec_b64 s[4:5], vcc
	s_cbranch_execz .LBB39_2
; %bb.1:
	s_load_dwordx8 s[4:11], s[0:1], 0x0
	s_load_dwordx2 s[12:13], s[0:1], 0x20
	s_ashr_i32 s3, s2, 31
	s_lshl_b64 s[14:15], s[2:3], 3
	s_waitcnt lgkmcnt(0)
	s_add_u32 s10, s10, s14
	s_addc_u32 s11, s11, s15
	s_load_dwordx2 s[14:15], s[10:11], 0x0
	s_load_dword s16, s[0:1], 0x28
	s_lshl_b64 s[0:1], s[12:13], 4
	s_mul_hi_u32 s10, s8, s2
	s_mul_i32 s3, s8, s3
	s_waitcnt lgkmcnt(0)
	s_add_u32 s0, s14, s0
	s_addc_u32 s1, s15, s1
	s_add_i32 s3, s10, s3
	s_mul_i32 s9, s9, s2
	s_add_i32 s3, s3, s9
	s_mul_i32 s2, s8, s2
	s_lshl_b64 s[2:3], s[2:3], 3
	s_add_u32 s4, s4, s2
	s_addc_u32 s5, s5, s3
	s_lshl_b64 s[2:3], s[6:7], 3
	s_add_u32 s2, s4, s2
	s_addc_u32 s3, s5, s3
	v_mad_u64_u32 v[2:3], s[4:5], v0, s16, v[0:1]
	v_ashrrev_i32_e32 v1, 31, v0
	v_lshl_add_u64 v[0:1], v[0:1], 3, s[2:3]
	global_load_dwordx2 v[0:1], v[0:1], off
	v_ashrrev_i32_e32 v3, 31, v2
	v_lshl_add_u64 v[4:5], v[2:3], 4, s[0:1]
	v_mov_b32_e32 v2, 0
	v_mov_b32_e32 v3, v2
	s_waitcnt vmcnt(0)
	flat_store_dwordx4 v[4:5], v[0:3]
.LBB39_2:
	s_endpgm
	.section	.rodata,"a",@progbits
	.p2align	6, 0x0
	.amdhsa_kernel _ZN9rocsolver6v33100L12restore_diagI19rocblas_complex_numIdEidPKPS3_EEvPT1_llT2_lT0_lSA_
		.amdhsa_group_segment_fixed_size 0
		.amdhsa_private_segment_fixed_size 0
		.amdhsa_kernarg_size 320
		.amdhsa_user_sgpr_count 2
		.amdhsa_user_sgpr_dispatch_ptr 0
		.amdhsa_user_sgpr_queue_ptr 0
		.amdhsa_user_sgpr_kernarg_segment_ptr 1
		.amdhsa_user_sgpr_dispatch_id 0
		.amdhsa_user_sgpr_kernarg_preload_length 0
		.amdhsa_user_sgpr_kernarg_preload_offset 0
		.amdhsa_user_sgpr_private_segment_size 0
		.amdhsa_uses_dynamic_stack 0
		.amdhsa_enable_private_segment 0
		.amdhsa_system_sgpr_workgroup_id_x 1
		.amdhsa_system_sgpr_workgroup_id_y 1
		.amdhsa_system_sgpr_workgroup_id_z 0
		.amdhsa_system_sgpr_workgroup_info 0
		.amdhsa_system_vgpr_workitem_id 1
		.amdhsa_next_free_vgpr 6
		.amdhsa_next_free_sgpr 17
		.amdhsa_accum_offset 8
		.amdhsa_reserve_vcc 1
		.amdhsa_float_round_mode_32 0
		.amdhsa_float_round_mode_16_64 0
		.amdhsa_float_denorm_mode_32 3
		.amdhsa_float_denorm_mode_16_64 3
		.amdhsa_dx10_clamp 1
		.amdhsa_ieee_mode 1
		.amdhsa_fp16_overflow 0
		.amdhsa_tg_split 0
		.amdhsa_exception_fp_ieee_invalid_op 0
		.amdhsa_exception_fp_denorm_src 0
		.amdhsa_exception_fp_ieee_div_zero 0
		.amdhsa_exception_fp_ieee_overflow 0
		.amdhsa_exception_fp_ieee_underflow 0
		.amdhsa_exception_fp_ieee_inexact 0
		.amdhsa_exception_int_div_zero 0
	.end_amdhsa_kernel
	.section	.text._ZN9rocsolver6v33100L12restore_diagI19rocblas_complex_numIdEidPKPS3_EEvPT1_llT2_lT0_lSA_,"axG",@progbits,_ZN9rocsolver6v33100L12restore_diagI19rocblas_complex_numIdEidPKPS3_EEvPT1_llT2_lT0_lSA_,comdat
.Lfunc_end39:
	.size	_ZN9rocsolver6v33100L12restore_diagI19rocblas_complex_numIdEidPKPS3_EEvPT1_llT2_lT0_lSA_, .Lfunc_end39-_ZN9rocsolver6v33100L12restore_diagI19rocblas_complex_numIdEidPKPS3_EEvPT1_llT2_lT0_lSA_
                                        ; -- End function
	.set _ZN9rocsolver6v33100L12restore_diagI19rocblas_complex_numIdEidPKPS3_EEvPT1_llT2_lT0_lSA_.num_vgpr, 6
	.set _ZN9rocsolver6v33100L12restore_diagI19rocblas_complex_numIdEidPKPS3_EEvPT1_llT2_lT0_lSA_.num_agpr, 0
	.set _ZN9rocsolver6v33100L12restore_diagI19rocblas_complex_numIdEidPKPS3_EEvPT1_llT2_lT0_lSA_.numbered_sgpr, 17
	.set _ZN9rocsolver6v33100L12restore_diagI19rocblas_complex_numIdEidPKPS3_EEvPT1_llT2_lT0_lSA_.num_named_barrier, 0
	.set _ZN9rocsolver6v33100L12restore_diagI19rocblas_complex_numIdEidPKPS3_EEvPT1_llT2_lT0_lSA_.private_seg_size, 0
	.set _ZN9rocsolver6v33100L12restore_diagI19rocblas_complex_numIdEidPKPS3_EEvPT1_llT2_lT0_lSA_.uses_vcc, 1
	.set _ZN9rocsolver6v33100L12restore_diagI19rocblas_complex_numIdEidPKPS3_EEvPT1_llT2_lT0_lSA_.uses_flat_scratch, 0
	.set _ZN9rocsolver6v33100L12restore_diagI19rocblas_complex_numIdEidPKPS3_EEvPT1_llT2_lT0_lSA_.has_dyn_sized_stack, 0
	.set _ZN9rocsolver6v33100L12restore_diagI19rocblas_complex_numIdEidPKPS3_EEvPT1_llT2_lT0_lSA_.has_recursion, 0
	.set _ZN9rocsolver6v33100L12restore_diagI19rocblas_complex_numIdEidPKPS3_EEvPT1_llT2_lT0_lSA_.has_indirect_call, 0
	.section	.AMDGPU.csdata,"",@progbits
; Kernel info:
; codeLenInByte = 232
; TotalNumSgprs: 23
; NumVgprs: 6
; NumAgprs: 0
; TotalNumVgprs: 6
; ScratchSize: 0
; MemoryBound: 0
; FloatMode: 240
; IeeeMode: 1
; LDSByteSize: 0 bytes/workgroup (compile time only)
; SGPRBlocks: 2
; VGPRBlocks: 0
; NumSGPRsForWavesPerEU: 23
; NumVGPRsForWavesPerEU: 6
; AccumOffset: 8
; Occupancy: 8
; WaveLimiterHint : 1
; COMPUTE_PGM_RSRC2:SCRATCH_EN: 0
; COMPUTE_PGM_RSRC2:USER_SGPR: 2
; COMPUTE_PGM_RSRC2:TRAP_HANDLER: 0
; COMPUTE_PGM_RSRC2:TGID_X_EN: 1
; COMPUTE_PGM_RSRC2:TGID_Y_EN: 1
; COMPUTE_PGM_RSRC2:TGID_Z_EN: 0
; COMPUTE_PGM_RSRC2:TIDIG_COMP_CNT: 1
; COMPUTE_PGM_RSRC3_GFX90A:ACCUM_OFFSET: 1
; COMPUTE_PGM_RSRC3_GFX90A:TG_SPLIT: 0
	.section	.text._ZN9rocsolver6v33100L18geqr2_kernel_smallILi256EflfPKPfEEvT1_S5_T3_lS5_lPT2_lPT0_l,"axG",@progbits,_ZN9rocsolver6v33100L18geqr2_kernel_smallILi256EflfPKPfEEvT1_S5_T3_lS5_lPT2_lPT0_l,comdat
	.globl	_ZN9rocsolver6v33100L18geqr2_kernel_smallILi256EflfPKPfEEvT1_S5_T3_lS5_lPT2_lPT0_l ; -- Begin function _ZN9rocsolver6v33100L18geqr2_kernel_smallILi256EflfPKPfEEvT1_S5_T3_lS5_lPT2_lPT0_l
	.p2align	8
	.type	_ZN9rocsolver6v33100L18geqr2_kernel_smallILi256EflfPKPfEEvT1_S5_T3_lS5_lPT2_lPT0_l,@function
_ZN9rocsolver6v33100L18geqr2_kernel_smallILi256EflfPKPfEEvT1_S5_T3_lS5_lPT2_lPT0_l: ; @_ZN9rocsolver6v33100L18geqr2_kernel_smallILi256EflfPKPfEEvT1_S5_T3_lS5_lPT2_lPT0_l
; %bb.0:
	s_load_dwordx8 s[12:19], s[0:1], 0x0
	s_load_dwordx2 s[10:11], s[0:1], 0x20
	s_mov_b32 s4, s3
	s_mov_b32 s5, 0
	s_lshl_b64 s[2:3], s[4:5], 3
	s_waitcnt lgkmcnt(0)
	s_add_u32 s2, s16, s2
	s_addc_u32 s3, s17, s3
	s_load_dwordx2 s[16:17], s[2:3], 0x0
	v_mov_b32_e32 v1, 0
	v_and_b32_e32 v2, 0x7f, v0
	v_mov_b32_e32 v3, v1
	v_cmp_gt_i64_e64 s[8:9], s[12:13], v[2:3]
	v_lshrrev_b32_e32 v4, 7, v0
	v_lshlrev_b32_e32 v6, 2, v2
	s_and_saveexec_b64 s[6:7], s[8:9]
	s_cbranch_execz .LBB40_6
; %bb.1:
	v_and_b32_e32 v7, 0x7f, v0
	v_mul_lo_u32 v8, s12, v4
	v_lshlrev_b32_e32 v7, 2, v7
	v_lshlrev_b32_e32 v8, 2, v8
	v_add3_u32 v16, v7, v8, 0
	v_mul_lo_u32 v9, s11, v4
	v_mul_lo_u32 v8, s10, v4
	s_lshl_b64 s[2:3], s[18:19], 2
	v_lshl_add_u64 v[8:9], v[8:9], 2, s[2:3]
	v_mov_b32_e32 v7, v1
	v_mov_b32_e32 v5, v1
	v_lshl_add_u64 v[8:9], v[8:9], 0, v[6:7]
	v_cmp_gt_i64_e32 vcc, s[14:15], v[4:5]
	s_lshl_b32 s5, s12, 3
	s_waitcnt lgkmcnt(0)
	v_lshl_add_u64 v[8:9], s[16:17], 0, v[8:9]
	s_lshl_b64 s[20:21], s[10:11], 3
	s_mov_b64 s[22:23], 0
	s_mov_b64 s[24:25], 0x80
	;; [unrolled: 1-line block ×3, first 2 shown]
	v_mov_b64_e32 v[10:11], v[2:3]
	s_branch .LBB40_3
.LBB40_2:                               ;   in Loop: Header=BB40_3 Depth=1
	s_or_b64 exec, exec, s[28:29]
	v_lshl_add_u64 v[10:11], v[10:11], 0, s[24:25]
	v_cmp_le_i64_e64 s[2:3], s[12:13], v[10:11]
	v_add_u32_e32 v16, 0x200, v16
	s_or_b64 s[22:23], s[2:3], s[22:23]
	v_lshl_add_u64 v[8:9], v[8:9], 0, s[26:27]
	s_andn2_b64 exec, exec, s[22:23]
	s_cbranch_execz .LBB40_6
.LBB40_3:                               ; =>This Loop Header: Depth=1
                                        ;     Child Loop BB40_5 Depth 2
	s_and_saveexec_b64 s[28:29], vcc
	s_cbranch_execz .LBB40_2
; %bb.4:                                ;   in Loop: Header=BB40_3 Depth=1
	s_mov_b64 s[30:31], 0
	v_mov_b64_e32 v[12:13], v[8:9]
	v_mov_b32_e32 v7, v16
	v_mov_b64_e32 v[14:15], v[4:5]
.LBB40_5:                               ;   Parent Loop BB40_3 Depth=1
                                        ; =>  This Inner Loop Header: Depth=2
	flat_load_dword v17, v[12:13]
	v_lshl_add_u64 v[14:15], v[14:15], 0, 2
	v_cmp_le_i64_e64 s[2:3], s[14:15], v[14:15]
	v_lshl_add_u64 v[12:13], v[12:13], 0, s[20:21]
	s_or_b64 s[30:31], s[2:3], s[30:31]
	s_waitcnt vmcnt(0) lgkmcnt(0)
	ds_write_b32 v7, v17
	v_add_u32_e32 v7, s5, v7
	s_andn2_b64 exec, exec, s[30:31]
	s_cbranch_execnz .LBB40_5
	s_branch .LBB40_2
.LBB40_6:
	s_or_b64 exec, exec, s[6:7]
	v_mov_b64_e32 v[8:9], s[12:13]
	v_cmp_lt_i64_e32 vcc, s[14:15], v[8:9]
	s_and_b64 s[2:3], vcc, exec
	s_cselect_b32 s29, s15, s13
	s_cselect_b32 s28, s14, s12
	v_cmp_lt_i64_e64 s[2:3], s[28:29], 1
	s_and_b64 vcc, exec, s[2:3]
	s_waitcnt lgkmcnt(0)
	s_barrier
	s_cbranch_vccnz .LBB40_43
; %bb.7:
	s_load_dwordx8 s[20:27], s[0:1], 0x30
	v_mbcnt_lo_u32_b32 v5, -1, 0
	v_mbcnt_hi_u32_b32 v8, -1, v5
	v_and_b32_e32 v9, 63, v8
	v_cmp_ne_u32_e32 vcc, 63, v9
	s_waitcnt lgkmcnt(0)
	s_mul_i32 s1, s23, s4
	s_mul_hi_u32 s2, s22, s4
	s_mul_i32 s0, s22, s4
	s_add_i32 s1, s2, s1
	s_lshl_b64 s[0:1], s[0:1], 2
	s_mul_i32 s3, s27, s4
	s_mul_hi_u32 s5, s26, s4
	s_add_u32 s33, s20, s0
	s_addc_u32 s42, s21, s1
	s_add_i32 s1, s5, s3
	s_mul_i32 s0, s26, s4
	s_lshl_b64 s[0:1], s[0:1], 2
	v_addc_co_u32_e32 v5, vcc, 0, v8, vcc
	s_add_u32 s43, s24, s0
	s_mul_i32 s0, s14, s12
	v_cmp_gt_u32_e32 vcc, 62, v9
	s_addc_u32 s44, s25, s1
	s_lshl_b32 s0, s0, 2
	v_cndmask_b32_e64 v7, 0, 2, vcc
	v_cmp_gt_u32_e32 vcc, 60, v9
	s_add_i32 s46, s0, 0
	s_lshl_b32 s0, s14, 2
	v_cndmask_b32_e64 v10, 0, 4, vcc
	v_cmp_gt_u32_e32 vcc, 56, v9
	s_add_i32 s47, s46, s0
	s_cmp_eq_u64 s[20:21], 0
	v_cndmask_b32_e64 v11, 0, 8, vcc
	v_cmp_gt_u32_e32 vcc, 48, v9
	s_cselect_b64 s[24:25], -1, 0
	s_cmp_lg_u64 s[20:21], 0
	v_cndmask_b32_e64 v9, 0, 16, vcc
	v_add_lshl_u32 v12, v9, v8, 2
	v_mov_b32_e32 v9, 0x80
	v_add_lshl_u32 v7, v7, v8, 2
	v_add_lshl_u32 v10, v10, v8, 2
	;; [unrolled: 1-line block ×3, first 2 shown]
	v_lshl_or_b32 v13, v8, 2, v9
	v_and_b32_e32 v8, 63, v0
	s_cselect_b64 s[20:21], -1, 0
	s_lshl_b32 s48, s12, 2
	v_mul_lo_u32 v15, s12, v0
	v_cmp_eq_u32_e64 s[2:3], 0, v8
	v_lshrrev_b32_e32 v8, 4, v0
	v_lshlrev_b32_e32 v9, 2, v0
	v_add_u32_e32 v15, s12, v15
	s_add_i32 s0, s48, 0
	s_mov_b32 s45, 0
	v_lshlrev_b32_e32 v5, 2, v5
	v_cmp_eq_u32_e64 s[4:5], 0, v0
	s_mov_b64 s[22:23], 0
	v_add3_u32 v14, v9, 0, 4
	s_add_i32 s49, s48, 4
	v_lshl_add_u32 v15, v15, 2, 0
	s_lshl_b32 s50, s12, 10
	v_add_u32_e32 v16, s0, v9
	s_mov_b64 s[26:27], 0x100
	v_add_u32_e32 v17, s47, v8
	v_mov_b32_e32 v18, 0
	s_mov_b32 s51, 0xf800000
	v_mov_b32_e32 v19, 0x260
	s_branch .LBB40_9
.LBB40_8:                               ;   in Loop: Header=BB40_9 Depth=1
	s_or_b64 exec, exec, s[6:7]
	s_add_u32 s22, s22, 1
	s_addc_u32 s23, s23, 0
	v_mov_b64_e32 v[8:9], s[22:23]
	v_cmp_le_i64_e32 vcc, s[28:29], v[8:9]
	v_add_u32_e32 v14, s49, v14
	s_add_i32 s45, s45, s49
	v_add_u32_e32 v15, s49, v15
	v_add_u32_e32 v16, s49, v16
	s_waitcnt lgkmcnt(0)
	s_barrier
	s_cbranch_vccnz .LBB40_43
.LBB40_9:                               ; =>This Loop Header: Depth=1
                                        ;     Child Loop BB40_11 Depth 2
                                        ;     Child Loop BB40_24 Depth 2
	;; [unrolled: 1-line block ×3, first 2 shown]
                                        ;       Child Loop BB40_30 Depth 3
                                        ;     Child Loop BB40_34 Depth 2
                                        ;       Child Loop BB40_36 Depth 3
	s_sub_u32 s30, s12, s22
	s_subb_u32 s31, s13, s23
	s_add_u32 s34, s30, -1
	s_addc_u32 s35, s31, -1
	v_cmp_gt_i64_e64 s[6:7], s[34:35], v[0:1]
	v_mov_b32_e32 v20, 0
	s_and_saveexec_b64 s[0:1], s[6:7]
	s_cbranch_execz .LBB40_13
; %bb.10:                               ;   in Loop: Header=BB40_9 Depth=1
	v_mov_b32_e32 v20, 0
	s_mov_b64 s[36:37], 0
	v_mov_b32_e32 v21, v14
	v_mov_b64_e32 v[8:9], v[0:1]
.LBB40_11:                              ;   Parent Loop BB40_9 Depth=1
                                        ; =>  This Inner Loop Header: Depth=2
	ds_read_b32 v22, v21
	v_lshl_add_u64 v[8:9], v[8:9], 0, s[26:27]
	v_cmp_le_i64_e32 vcc, s[34:35], v[8:9]
	v_add_u32_e32 v21, 0x400, v21
	s_or_b64 s[36:37], vcc, s[36:37]
	s_waitcnt lgkmcnt(0)
	v_fmac_f32_e32 v20, v22, v22
	s_andn2_b64 exec, exec, s[36:37]
	s_cbranch_execnz .LBB40_11
; %bb.12:                               ;   in Loop: Header=BB40_9 Depth=1
	s_or_b64 exec, exec, s[36:37]
.LBB40_13:                              ;   in Loop: Header=BB40_9 Depth=1
	s_or_b64 exec, exec, s[0:1]
	ds_bpermute_b32 v8, v5, v20
	s_waitcnt lgkmcnt(0)
	v_add_f32_e32 v8, v20, v8
	ds_bpermute_b32 v9, v7, v8
	s_waitcnt lgkmcnt(0)
	v_add_f32_e32 v8, v8, v9
	;; [unrolled: 3-line block ×6, first 2 shown]
	s_and_saveexec_b64 s[0:1], s[2:3]
; %bb.14:                               ;   in Loop: Header=BB40_9 Depth=1
	ds_write_b32 v17, v8 offset:4
; %bb.15:                               ;   in Loop: Header=BB40_9 Depth=1
	s_or_b64 exec, exec, s[0:1]
	s_lshl_b32 s0, s22, 2
	s_add_i32 s52, s0, 0
	s_mul_i32 s0, s22, s12
	s_lshl_b32 s0, s0, 2
	s_add_i32 s52, s52, s0
	s_waitcnt lgkmcnt(0)
	s_barrier
	s_and_saveexec_b64 s[36:37], s[4:5]
	s_cbranch_execz .LBB40_22
; %bb.16:                               ;   in Loop: Header=BB40_9 Depth=1
	v_mov_b32_e32 v9, s47
	ds_read2_b32 v[20:21], v9 offset0:2 offset1:3
	ds_read_b32 v9, v9 offset:16
	s_mov_b64 s[0:1], 0
	s_mov_b64 s[38:39], 0
	s_waitcnt lgkmcnt(1)
	v_add_f32_e32 v8, v8, v20
	v_add_f32_e32 v8, v8, v21
	s_waitcnt lgkmcnt(0)
	v_add_f32_e32 v20, v8, v9
	v_cmp_nlt_f32_e32 vcc, 0, v20
                                        ; implicit-def: $vgpr8
	s_and_saveexec_b64 s[40:41], vcc
	s_xor_b64 s[40:41], exec, s[40:41]
	s_cbranch_execnz .LBB40_37
; %bb.17:                               ;   in Loop: Header=BB40_9 Depth=1
	s_or_saveexec_b64 s[40:41], s[40:41]
	v_mov_b32_e32 v9, 1.0
	s_xor_b64 exec, exec, s[40:41]
	s_cbranch_execnz .LBB40_41
.LBB40_18:                              ;   in Loop: Header=BB40_9 Depth=1
	s_or_b64 exec, exec, s[40:41]
	s_and_saveexec_b64 s[40:41], s[38:39]
	s_cbranch_execnz .LBB40_42
.LBB40_19:                              ;   in Loop: Header=BB40_9 Depth=1
	s_or_b64 exec, exec, s[40:41]
	v_mov_b32_e32 v20, 0
	s_and_saveexec_b64 s[38:39], s[0:1]
	s_cbranch_execz .LBB40_21
.LBB40_20:                              ;   in Loop: Header=BB40_9 Depth=1
	v_mov_b32_e32 v20, s52
	s_waitcnt lgkmcnt(0)
	ds_write_b32 v20, v8
	v_mov_b32_e32 v8, s47
	ds_read_b32 v20, v8
.LBB40_21:                              ;   in Loop: Header=BB40_9 Depth=1
	s_or_b64 exec, exec, s[38:39]
	s_lshl_b64 s[0:1], s[22:23], 2
	s_add_u32 s0, s43, s0
	s_addc_u32 s1, s44, s1
	s_waitcnt lgkmcnt(0)
	v_mov_b32_e32 v8, s47
	global_store_dword v18, v20, s[0:1]
	ds_write_b32 v8, v9 offset:4
.LBB40_22:                              ;   in Loop: Header=BB40_9 Depth=1
	s_or_b64 exec, exec, s[36:37]
	s_waitcnt lgkmcnt(0)
	s_barrier
	s_and_saveexec_b64 s[0:1], s[6:7]
	s_cbranch_execz .LBB40_25
; %bb.23:                               ;   in Loop: Header=BB40_9 Depth=1
	s_mov_b32 s36, 0
	s_mov_b64 s[6:7], 0
	v_mov_b64_e32 v[8:9], v[0:1]
.LBB40_24:                              ;   Parent Loop BB40_9 Depth=1
                                        ; =>  This Inner Loop Header: Depth=2
	v_mov_b32_e32 v20, s47
	v_add_u32_e32 v21, s36, v14
	ds_read_b32 v20, v20 offset:4
	ds_read_b32 v22, v21
	v_lshl_add_u64 v[8:9], v[8:9], 0, s[26:27]
	s_addk_i32 s36, 0x400
	v_cmp_le_i64_e32 vcc, s[34:35], v[8:9]
	s_or_b64 s[6:7], vcc, s[6:7]
	s_waitcnt lgkmcnt(0)
	v_mul_f32_e32 v20, v20, v22
	ds_write_b32 v21, v20
	s_andn2_b64 exec, exec, s[6:7]
	s_cbranch_execnz .LBB40_24
.LBB40_25:                              ;   in Loop: Header=BB40_9 Depth=1
	s_or_b64 exec, exec, s[0:1]
	s_not_b64 s[0:1], s[22:23]
	s_add_u32 s0, s14, s0
	s_addc_u32 s1, s15, s1
	v_cmp_gt_i64_e32 vcc, s[0:1], v[0:1]
	s_waitcnt lgkmcnt(0)
	s_barrier
	s_and_saveexec_b64 s[6:7], vcc
	s_cbranch_execz .LBB40_31
; %bb.26:                               ;   in Loop: Header=BB40_9 Depth=1
	s_mov_b64 s[34:35], 0
	v_cmp_gt_i64_e64 s[36:37], s[30:31], 0
	v_mov_b32_e32 v20, v15
	v_mov_b64_e32 v[8:9], v[0:1]
	s_branch .LBB40_28
.LBB40_27:                              ;   in Loop: Header=BB40_28 Depth=2
	v_mov_b32_e32 v22, s47
	ds_read_b32 v22, v22
	v_lshl_add_u32 v23, v8, 2, s46
	v_lshl_add_u64 v[8:9], v[8:9], 0, s[26:27]
	v_cmp_le_i64_e32 vcc, s[0:1], v[8:9]
	s_or_b64 s[34:35], vcc, s[34:35]
	s_waitcnt lgkmcnt(0)
	v_mul_f32_e32 v21, v21, v22
	v_add_u32_e32 v20, s50, v20
	ds_write_b32 v23, v21
	s_andn2_b64 exec, exec, s[34:35]
	s_cbranch_execz .LBB40_31
.LBB40_28:                              ;   Parent Loop BB40_9 Depth=1
                                        ; =>  This Loop Header: Depth=2
                                        ;       Child Loop BB40_30 Depth 3
	v_mov_b32_e32 v21, 0
	s_andn2_b64 vcc, exec, s[36:37]
	s_cbranch_vccnz .LBB40_27
; %bb.29:                               ;   in Loop: Header=BB40_28 Depth=2
	s_mov_b64 s[38:39], 0
	v_mov_b32_e32 v22, v20
	s_mov_b32 s40, s45
.LBB40_30:                              ;   Parent Loop BB40_9 Depth=1
                                        ;     Parent Loop BB40_28 Depth=2
                                        ; =>    This Inner Loop Header: Depth=3
	v_mov_b32_e32 v26, s40
	ds_read_b32 v23, v22
	ds_read_b32 v26, v26
	s_add_u32 s38, s38, 1
	v_mov_b64_e32 v[24:25], s[30:31]
	s_addc_u32 s39, s39, 0
	v_cmp_ge_i64_e32 vcc, s[38:39], v[24:25]
	v_add_u32_e32 v22, 4, v22
	s_add_i32 s40, s40, 4
	s_waitcnt lgkmcnt(0)
	v_fmac_f32_e32 v21, v23, v26
	s_cbranch_vccz .LBB40_30
	s_branch .LBB40_27
.LBB40_31:                              ;   in Loop: Header=BB40_9 Depth=1
	s_or_b64 exec, exec, s[6:7]
	v_cmp_gt_i64_e32 vcc, s[30:31], v[0:1]
	s_waitcnt lgkmcnt(0)
	s_barrier
	s_and_saveexec_b64 s[6:7], vcc
	s_cbranch_execz .LBB40_8
; %bb.32:                               ;   in Loop: Header=BB40_9 Depth=1
	s_mov_b64 s[34:35], 0
	v_cmp_gt_i64_e64 s[36:37], s[0:1], 0
	v_mov_b32_e32 v20, v16
	v_mov_b64_e32 v[8:9], v[0:1]
	s_branch .LBB40_34
.LBB40_33:                              ;   in Loop: Header=BB40_34 Depth=2
	v_lshl_add_u64 v[8:9], v[8:9], 0, s[26:27]
	v_cmp_le_i64_e32 vcc, s[30:31], v[8:9]
	s_or_b64 s[34:35], vcc, s[34:35]
	v_add_u32_e32 v20, 0x400, v20
	s_andn2_b64 exec, exec, s[34:35]
	s_cbranch_execz .LBB40_8
.LBB40_34:                              ;   Parent Loop BB40_9 Depth=1
                                        ; =>  This Loop Header: Depth=2
                                        ;       Child Loop BB40_36 Depth 3
	s_andn2_b64 vcc, exec, s[36:37]
	s_cbranch_vccnz .LBB40_33
; %bb.35:                               ;   in Loop: Header=BB40_34 Depth=2
	v_lshl_add_u32 v21, v8, 2, s52
	s_mov_b64 s[38:39], 0
	s_mov_b32 s40, s46
	v_mov_b32_e32 v22, v20
.LBB40_36:                              ;   Parent Loop BB40_9 Depth=1
                                        ;     Parent Loop BB40_34 Depth=2
                                        ; =>    This Inner Loop Header: Depth=3
	v_mov_b32_e32 v25, s40
	ds_read_b32 v23, v22
	ds_read_b32 v24, v21
	;; [unrolled: 1-line block ×3, first 2 shown]
	s_add_u32 s38, s38, 1
	s_addc_u32 s39, s39, 0
	s_add_i32 s40, s40, 4
	s_waitcnt lgkmcnt(0)
	v_fma_f32 v23, -v24, v25, v23
	v_mov_b64_e32 v[24:25], s[0:1]
	v_cmp_ge_i64_e32 vcc, s[38:39], v[24:25]
	ds_write_b32 v22, v23
	v_add_u32_e32 v22, s48, v22
	s_cbranch_vccz .LBB40_36
	s_branch .LBB40_33
.LBB40_37:                              ;   in Loop: Header=BB40_9 Depth=1
	v_mov_b32_e32 v8, s47
	s_and_b64 vcc, exec, s[20:21]
	ds_write_b32 v8, v18
	s_cbranch_vccz .LBB40_39
; %bb.38:                               ;   in Loop: Header=BB40_9 Depth=1
	v_mov_b32_e32 v8, s52
	ds_read_b32 v8, v8
	s_mov_b64 s[38:39], -1
	s_branch .LBB40_40
.LBB40_39:                              ;   in Loop: Header=BB40_9 Depth=1
                                        ; implicit-def: $vgpr8
.LBB40_40:                              ;   in Loop: Header=BB40_9 Depth=1
	s_and_b64 s[38:39], s[38:39], exec
                                        ; implicit-def: $vgpr20
	s_or_saveexec_b64 s[40:41], s[40:41]
	v_mov_b32_e32 v9, 1.0
	s_xor_b64 exec, exec, s[40:41]
	s_cbranch_execz .LBB40_18
.LBB40_41:                              ;   in Loop: Header=BB40_9 Depth=1
	s_waitcnt lgkmcnt(0)
	v_mov_b32_e32 v8, s52
	ds_read_b32 v9, v8
	s_andn2_b64 s[38:39], s[38:39], exec
	s_and_b64 s[54:55], s[20:21], exec
	s_or_b64 s[38:39], s[38:39], s[54:55]
	s_waitcnt lgkmcnt(0)
	v_fmac_f32_e32 v20, v9, v9
	v_mul_f32_e32 v8, 0x4f800000, v20
	v_cmp_gt_f32_e32 vcc, s51, v20
	s_nop 1
	v_cndmask_b32_e32 v8, v20, v8, vcc
	v_sqrt_f32_e32 v20, v8
	s_nop 0
	v_add_u32_e32 v21, -1, v20
	v_add_u32_e32 v22, 1, v20
	v_fma_f32 v23, -v21, v20, v8
	v_fma_f32 v24, -v22, v20, v8
	v_cmp_ge_f32_e64 s[0:1], 0, v23
	s_nop 1
	v_cndmask_b32_e64 v20, v20, v21, s[0:1]
	v_cmp_lt_f32_e64 s[0:1], 0, v24
	s_nop 1
	v_cndmask_b32_e64 v20, v20, v22, s[0:1]
	v_mul_f32_e32 v21, 0x37800000, v20
	v_cndmask_b32_e32 v20, v20, v21, vcc
	v_cmp_class_f32_e32 vcc, v8, v19
	s_nop 1
	v_cndmask_b32_e32 v8, v20, v8, vcc
	v_cmp_le_f32_e32 vcc, 0, v9
	s_nop 1
	v_cndmask_b32_e64 v8, v8, -v8, vcc
	v_sub_f32_e32 v20, v9, v8
	v_div_scale_f32 v21, s[0:1], v20, v20, 1.0
	v_rcp_f32_e32 v22, v21
	v_div_scale_f32 v23, vcc, 1.0, v20, 1.0
	v_fma_f32 v24, -v21, v22, 1.0
	v_fmac_f32_e32 v22, v24, v22
	v_mul_f32_e32 v24, v23, v22
	v_fma_f32 v25, -v21, v24, v23
	v_fmac_f32_e32 v24, v25, v22
	v_fma_f32 v21, -v21, v24, v23
	v_sub_f32_e32 v23, v8, v9
	v_div_scale_f32 v25, s[0:1], v8, v8, v23
	v_rcp_f32_e32 v26, v25
	v_div_fmas_f32 v9, v21, v22, v24
	v_div_fixup_f32 v9, v9, v20, 1.0
	s_and_b64 s[0:1], s[24:25], exec
	v_fma_f32 v20, -v25, v26, 1.0
	v_fmac_f32_e32 v26, v20, v26
	v_div_scale_f32 v20, vcc, v23, v8, v23
	v_mul_f32_e32 v21, v20, v26
	v_fma_f32 v22, -v25, v21, v20
	v_fmac_f32_e32 v21, v22, v26
	v_fma_f32 v20, -v25, v21, v20
	v_div_fmas_f32 v20, v20, v26, v21
	v_div_fixup_f32 v20, v20, v8, v23
	v_mov_b32_e32 v21, s47
	ds_write_b32 v21, v20
	s_or_b64 exec, exec, s[40:41]
	s_and_saveexec_b64 s[40:41], s[38:39]
	s_cbranch_execz .LBB40_19
.LBB40_42:                              ;   in Loop: Header=BB40_9 Depth=1
	s_lshl_b64 s[38:39], s[22:23], 2
	s_add_u32 s38, s33, s38
	s_addc_u32 s39, s42, s39
	s_waitcnt lgkmcnt(0)
	global_store_dword v18, v8, s[38:39]
	v_mov_b32_e32 v8, 1.0
	s_or_b64 s[0:1], s[0:1], exec
	s_or_b64 exec, exec, s[40:41]
	v_mov_b32_e32 v20, 0
	s_and_saveexec_b64 s[38:39], s[0:1]
	s_cbranch_execnz .LBB40_20
	s_branch .LBB40_21
.LBB40_43:
	s_and_saveexec_b64 s[0:1], s[8:9]
	s_cbranch_execz .LBB40_49
; %bb.44:
	v_mov_b32_e32 v5, 0
	v_mul_lo_u32 v9, s11, v4
	v_mul_lo_u32 v8, s10, v4
	s_lshl_b64 s[0:1], s[18:19], 2
	v_lshl_add_u64 v[8:9], v[8:9], 2, s[0:1]
	v_mov_b32_e32 v7, v5
	v_and_b32_e32 v0, 0x7f, v0
	v_mul_lo_u32 v1, s12, v4
	v_lshl_add_u64 v[6:7], v[8:9], 0, v[6:7]
	v_lshlrev_b32_e32 v0, 2, v0
	v_lshlrev_b32_e32 v1, 2, v1
	v_cmp_gt_i64_e32 vcc, s[14:15], v[4:5]
	v_lshl_add_u64 v[6:7], s[16:17], 0, v[6:7]
	s_lshl_b64 s[2:3], s[10:11], 3
	v_add3_u32 v10, v0, v1, 0
	s_lshl_b32 s18, s12, 3
	s_mov_b64 s[4:5], 0
	s_mov_b64 s[6:7], 0x80
	;; [unrolled: 1-line block ×3, first 2 shown]
	s_branch .LBB40_46
.LBB40_45:                              ;   in Loop: Header=BB40_46 Depth=1
	s_or_b64 exec, exec, s[10:11]
	v_lshl_add_u64 v[2:3], v[2:3], 0, s[6:7]
	v_cmp_le_i64_e64 s[0:1], s[12:13], v[2:3]
	v_lshl_add_u64 v[6:7], v[6:7], 0, s[8:9]
	s_or_b64 s[4:5], s[0:1], s[4:5]
	v_add_u32_e32 v10, 0x200, v10
	s_andn2_b64 exec, exec, s[4:5]
	s_cbranch_execz .LBB40_49
.LBB40_46:                              ; =>This Loop Header: Depth=1
                                        ;     Child Loop BB40_48 Depth 2
	s_and_saveexec_b64 s[10:11], vcc
	s_cbranch_execz .LBB40_45
; %bb.47:                               ;   in Loop: Header=BB40_46 Depth=1
	s_mov_b64 s[16:17], 0
	v_mov_b32_e32 v11, v10
	v_mov_b64_e32 v[0:1], v[6:7]
	v_mov_b64_e32 v[8:9], v[4:5]
.LBB40_48:                              ;   Parent Loop BB40_46 Depth=1
                                        ; =>  This Inner Loop Header: Depth=2
	ds_read_b32 v12, v11
	v_lshl_add_u64 v[8:9], v[8:9], 0, 2
	v_cmp_le_i64_e64 s[0:1], s[14:15], v[8:9]
	v_add_u32_e32 v11, s18, v11
	s_or_b64 s[16:17], s[0:1], s[16:17]
	s_waitcnt lgkmcnt(0)
	flat_store_dword v[0:1], v12
	v_lshl_add_u64 v[0:1], v[0:1], 0, s[2:3]
	s_andn2_b64 exec, exec, s[16:17]
	s_cbranch_execnz .LBB40_48
	s_branch .LBB40_45
.LBB40_49:
	s_endpgm
	.section	.rodata,"a",@progbits
	.p2align	6, 0x0
	.amdhsa_kernel _ZN9rocsolver6v33100L18geqr2_kernel_smallILi256EflfPKPfEEvT1_S5_T3_lS5_lPT2_lPT0_l
		.amdhsa_group_segment_fixed_size 0
		.amdhsa_private_segment_fixed_size 0
		.amdhsa_kernarg_size 80
		.amdhsa_user_sgpr_count 2
		.amdhsa_user_sgpr_dispatch_ptr 0
		.amdhsa_user_sgpr_queue_ptr 0
		.amdhsa_user_sgpr_kernarg_segment_ptr 1
		.amdhsa_user_sgpr_dispatch_id 0
		.amdhsa_user_sgpr_kernarg_preload_length 0
		.amdhsa_user_sgpr_kernarg_preload_offset 0
		.amdhsa_user_sgpr_private_segment_size 0
		.amdhsa_uses_dynamic_stack 0
		.amdhsa_enable_private_segment 0
		.amdhsa_system_sgpr_workgroup_id_x 1
		.amdhsa_system_sgpr_workgroup_id_y 0
		.amdhsa_system_sgpr_workgroup_id_z 1
		.amdhsa_system_sgpr_workgroup_info 0
		.amdhsa_system_vgpr_workitem_id 0
		.amdhsa_next_free_vgpr 27
		.amdhsa_next_free_sgpr 56
		.amdhsa_accum_offset 28
		.amdhsa_reserve_vcc 1
		.amdhsa_float_round_mode_32 0
		.amdhsa_float_round_mode_16_64 0
		.amdhsa_float_denorm_mode_32 3
		.amdhsa_float_denorm_mode_16_64 3
		.amdhsa_dx10_clamp 1
		.amdhsa_ieee_mode 1
		.amdhsa_fp16_overflow 0
		.amdhsa_tg_split 0
		.amdhsa_exception_fp_ieee_invalid_op 0
		.amdhsa_exception_fp_denorm_src 0
		.amdhsa_exception_fp_ieee_div_zero 0
		.amdhsa_exception_fp_ieee_overflow 0
		.amdhsa_exception_fp_ieee_underflow 0
		.amdhsa_exception_fp_ieee_inexact 0
		.amdhsa_exception_int_div_zero 0
	.end_amdhsa_kernel
	.section	.text._ZN9rocsolver6v33100L18geqr2_kernel_smallILi256EflfPKPfEEvT1_S5_T3_lS5_lPT2_lPT0_l,"axG",@progbits,_ZN9rocsolver6v33100L18geqr2_kernel_smallILi256EflfPKPfEEvT1_S5_T3_lS5_lPT2_lPT0_l,comdat
.Lfunc_end40:
	.size	_ZN9rocsolver6v33100L18geqr2_kernel_smallILi256EflfPKPfEEvT1_S5_T3_lS5_lPT2_lPT0_l, .Lfunc_end40-_ZN9rocsolver6v33100L18geqr2_kernel_smallILi256EflfPKPfEEvT1_S5_T3_lS5_lPT2_lPT0_l
                                        ; -- End function
	.set _ZN9rocsolver6v33100L18geqr2_kernel_smallILi256EflfPKPfEEvT1_S5_T3_lS5_lPT2_lPT0_l.num_vgpr, 27
	.set _ZN9rocsolver6v33100L18geqr2_kernel_smallILi256EflfPKPfEEvT1_S5_T3_lS5_lPT2_lPT0_l.num_agpr, 0
	.set _ZN9rocsolver6v33100L18geqr2_kernel_smallILi256EflfPKPfEEvT1_S5_T3_lS5_lPT2_lPT0_l.numbered_sgpr, 56
	.set _ZN9rocsolver6v33100L18geqr2_kernel_smallILi256EflfPKPfEEvT1_S5_T3_lS5_lPT2_lPT0_l.num_named_barrier, 0
	.set _ZN9rocsolver6v33100L18geqr2_kernel_smallILi256EflfPKPfEEvT1_S5_T3_lS5_lPT2_lPT0_l.private_seg_size, 0
	.set _ZN9rocsolver6v33100L18geqr2_kernel_smallILi256EflfPKPfEEvT1_S5_T3_lS5_lPT2_lPT0_l.uses_vcc, 1
	.set _ZN9rocsolver6v33100L18geqr2_kernel_smallILi256EflfPKPfEEvT1_S5_T3_lS5_lPT2_lPT0_l.uses_flat_scratch, 0
	.set _ZN9rocsolver6v33100L18geqr2_kernel_smallILi256EflfPKPfEEvT1_S5_T3_lS5_lPT2_lPT0_l.has_dyn_sized_stack, 0
	.set _ZN9rocsolver6v33100L18geqr2_kernel_smallILi256EflfPKPfEEvT1_S5_T3_lS5_lPT2_lPT0_l.has_recursion, 0
	.set _ZN9rocsolver6v33100L18geqr2_kernel_smallILi256EflfPKPfEEvT1_S5_T3_lS5_lPT2_lPT0_l.has_indirect_call, 0
	.section	.AMDGPU.csdata,"",@progbits
; Kernel info:
; codeLenInByte = 2456
; TotalNumSgprs: 62
; NumVgprs: 27
; NumAgprs: 0
; TotalNumVgprs: 27
; ScratchSize: 0
; MemoryBound: 0
; FloatMode: 240
; IeeeMode: 1
; LDSByteSize: 0 bytes/workgroup (compile time only)
; SGPRBlocks: 7
; VGPRBlocks: 3
; NumSGPRsForWavesPerEU: 62
; NumVGPRsForWavesPerEU: 27
; AccumOffset: 28
; Occupancy: 8
; WaveLimiterHint : 0
; COMPUTE_PGM_RSRC2:SCRATCH_EN: 0
; COMPUTE_PGM_RSRC2:USER_SGPR: 2
; COMPUTE_PGM_RSRC2:TRAP_HANDLER: 0
; COMPUTE_PGM_RSRC2:TGID_X_EN: 1
; COMPUTE_PGM_RSRC2:TGID_Y_EN: 0
; COMPUTE_PGM_RSRC2:TGID_Z_EN: 1
; COMPUTE_PGM_RSRC2:TIDIG_COMP_CNT: 0
; COMPUTE_PGM_RSRC3_GFX90A:ACCUM_OFFSET: 6
; COMPUTE_PGM_RSRC3_GFX90A:TG_SPLIT: 0
	.section	.text._ZN9rocsolver6v33100L8set_diagIflfPKPfTnNSt9enable_ifIXoont18rocblas_is_complexIT_E18rocblas_is_complexIT1_EEiE4typeELi0EEEvPS7_llT2_lT0_lSC_b,"axG",@progbits,_ZN9rocsolver6v33100L8set_diagIflfPKPfTnNSt9enable_ifIXoont18rocblas_is_complexIT_E18rocblas_is_complexIT1_EEiE4typeELi0EEEvPS7_llT2_lT0_lSC_b,comdat
	.globl	_ZN9rocsolver6v33100L8set_diagIflfPKPfTnNSt9enable_ifIXoont18rocblas_is_complexIT_E18rocblas_is_complexIT1_EEiE4typeELi0EEEvPS7_llT2_lT0_lSC_b ; -- Begin function _ZN9rocsolver6v33100L8set_diagIflfPKPfTnNSt9enable_ifIXoont18rocblas_is_complexIT_E18rocblas_is_complexIT1_EEiE4typeELi0EEEvPS7_llT2_lT0_lSC_b
	.p2align	8
	.type	_ZN9rocsolver6v33100L8set_diagIflfPKPfTnNSt9enable_ifIXoont18rocblas_is_complexIT_E18rocblas_is_complexIT1_EEiE4typeELi0EEEvPS7_llT2_lT0_lSC_b,@function
_ZN9rocsolver6v33100L8set_diagIflfPKPfTnNSt9enable_ifIXoont18rocblas_is_complexIT_E18rocblas_is_complexIT1_EEiE4typeELi0EEEvPS7_llT2_lT0_lSC_b: ; @_ZN9rocsolver6v33100L8set_diagIflfPKPfTnNSt9enable_ifIXoont18rocblas_is_complexIT_E18rocblas_is_complexIT1_EEiE4typeELi0EEEvPS7_llT2_lT0_lSC_b
; %bb.0:
	s_load_dword s6, s[0:1], 0x54
	s_load_dwordx2 s[4:5], s[0:1], 0x38
	v_bfe_u32 v0, v0, 10, 10
	v_mov_b32_e32 v1, 0
	s_waitcnt lgkmcnt(0)
	s_lshr_b32 s6, s6, 16
	s_mul_i32 s3, s3, s6
	v_add_u32_e32 v0, s3, v0
	v_cmp_gt_i64_e32 vcc, s[4:5], v[0:1]
	s_and_saveexec_b64 s[4:5], vcc
	s_cbranch_execz .LBB41_2
; %bb.1:
	s_load_dword s16, s[0:1], 0x40
	s_load_dwordx4 s[12:15], s[0:1], 0x20
	s_load_dwordx8 s[4:11], s[0:1], 0x0
	s_mov_b32 s3, 0
	s_waitcnt lgkmcnt(0)
	s_bitcmp1_b32 s16, 0
	s_cselect_b64 s[0:1], -1, 0
	s_lshl_b64 s[16:17], s[2:3], 3
	s_add_u32 s10, s10, s16
	s_addc_u32 s11, s11, s17
	s_load_dwordx2 s[10:11], s[10:11], 0x0
	v_mad_u64_u32 v[2:3], s[16:17], v0, s14, v[0:1]
	s_lshl_b64 s[12:13], s[12:13], 2
	v_mov_b32_e32 v4, v3
	s_waitcnt lgkmcnt(0)
	s_add_u32 s10, s10, s12
	s_addc_u32 s11, s11, s13
	v_mad_u64_u32 v[4:5], s[12:13], v0, s15, v[4:5]
	v_mov_b32_e32 v3, v4
	v_lshl_add_u64 v[2:3], v[2:3], 2, s[10:11]
	flat_load_dword v4, v[2:3]
	s_mul_i32 s3, s9, s2
	s_mul_hi_u32 s9, s8, s2
	s_mul_i32 s2, s8, s2
	s_add_i32 s3, s9, s3
	s_lshl_b64 s[2:3], s[2:3], 2
	s_add_u32 s4, s4, s2
	s_addc_u32 s5, s5, s3
	s_lshl_b64 s[2:3], s[6:7], 2
	s_add_u32 s2, s4, s2
	s_addc_u32 s3, s5, s3
	v_lshl_add_u64 v[0:1], v[0:1], 2, s[2:3]
	s_waitcnt vmcnt(0) lgkmcnt(0)
	global_store_dword v[0:1], v4, off
	v_cndmask_b32_e64 v0, v4, 1.0, s[0:1]
	flat_store_dword v[2:3], v0
.LBB41_2:
	s_endpgm
	.section	.rodata,"a",@progbits
	.p2align	6, 0x0
	.amdhsa_kernel _ZN9rocsolver6v33100L8set_diagIflfPKPfTnNSt9enable_ifIXoont18rocblas_is_complexIT_E18rocblas_is_complexIT1_EEiE4typeELi0EEEvPS7_llT2_lT0_lSC_b
		.amdhsa_group_segment_fixed_size 0
		.amdhsa_private_segment_fixed_size 0
		.amdhsa_kernarg_size 328
		.amdhsa_user_sgpr_count 2
		.amdhsa_user_sgpr_dispatch_ptr 0
		.amdhsa_user_sgpr_queue_ptr 0
		.amdhsa_user_sgpr_kernarg_segment_ptr 1
		.amdhsa_user_sgpr_dispatch_id 0
		.amdhsa_user_sgpr_kernarg_preload_length 0
		.amdhsa_user_sgpr_kernarg_preload_offset 0
		.amdhsa_user_sgpr_private_segment_size 0
		.amdhsa_uses_dynamic_stack 0
		.amdhsa_enable_private_segment 0
		.amdhsa_system_sgpr_workgroup_id_x 1
		.amdhsa_system_sgpr_workgroup_id_y 1
		.amdhsa_system_sgpr_workgroup_id_z 0
		.amdhsa_system_sgpr_workgroup_info 0
		.amdhsa_system_vgpr_workitem_id 1
		.amdhsa_next_free_vgpr 6
		.amdhsa_next_free_sgpr 18
		.amdhsa_accum_offset 8
		.amdhsa_reserve_vcc 1
		.amdhsa_float_round_mode_32 0
		.amdhsa_float_round_mode_16_64 0
		.amdhsa_float_denorm_mode_32 3
		.amdhsa_float_denorm_mode_16_64 3
		.amdhsa_dx10_clamp 1
		.amdhsa_ieee_mode 1
		.amdhsa_fp16_overflow 0
		.amdhsa_tg_split 0
		.amdhsa_exception_fp_ieee_invalid_op 0
		.amdhsa_exception_fp_denorm_src 0
		.amdhsa_exception_fp_ieee_div_zero 0
		.amdhsa_exception_fp_ieee_overflow 0
		.amdhsa_exception_fp_ieee_underflow 0
		.amdhsa_exception_fp_ieee_inexact 0
		.amdhsa_exception_int_div_zero 0
	.end_amdhsa_kernel
	.section	.text._ZN9rocsolver6v33100L8set_diagIflfPKPfTnNSt9enable_ifIXoont18rocblas_is_complexIT_E18rocblas_is_complexIT1_EEiE4typeELi0EEEvPS7_llT2_lT0_lSC_b,"axG",@progbits,_ZN9rocsolver6v33100L8set_diagIflfPKPfTnNSt9enable_ifIXoont18rocblas_is_complexIT_E18rocblas_is_complexIT1_EEiE4typeELi0EEEvPS7_llT2_lT0_lSC_b,comdat
.Lfunc_end41:
	.size	_ZN9rocsolver6v33100L8set_diagIflfPKPfTnNSt9enable_ifIXoont18rocblas_is_complexIT_E18rocblas_is_complexIT1_EEiE4typeELi0EEEvPS7_llT2_lT0_lSC_b, .Lfunc_end41-_ZN9rocsolver6v33100L8set_diagIflfPKPfTnNSt9enable_ifIXoont18rocblas_is_complexIT_E18rocblas_is_complexIT1_EEiE4typeELi0EEEvPS7_llT2_lT0_lSC_b
                                        ; -- End function
	.set _ZN9rocsolver6v33100L8set_diagIflfPKPfTnNSt9enable_ifIXoont18rocblas_is_complexIT_E18rocblas_is_complexIT1_EEiE4typeELi0EEEvPS7_llT2_lT0_lSC_b.num_vgpr, 6
	.set _ZN9rocsolver6v33100L8set_diagIflfPKPfTnNSt9enable_ifIXoont18rocblas_is_complexIT_E18rocblas_is_complexIT1_EEiE4typeELi0EEEvPS7_llT2_lT0_lSC_b.num_agpr, 0
	.set _ZN9rocsolver6v33100L8set_diagIflfPKPfTnNSt9enable_ifIXoont18rocblas_is_complexIT_E18rocblas_is_complexIT1_EEiE4typeELi0EEEvPS7_llT2_lT0_lSC_b.numbered_sgpr, 18
	.set _ZN9rocsolver6v33100L8set_diagIflfPKPfTnNSt9enable_ifIXoont18rocblas_is_complexIT_E18rocblas_is_complexIT1_EEiE4typeELi0EEEvPS7_llT2_lT0_lSC_b.num_named_barrier, 0
	.set _ZN9rocsolver6v33100L8set_diagIflfPKPfTnNSt9enable_ifIXoont18rocblas_is_complexIT_E18rocblas_is_complexIT1_EEiE4typeELi0EEEvPS7_llT2_lT0_lSC_b.private_seg_size, 0
	.set _ZN9rocsolver6v33100L8set_diagIflfPKPfTnNSt9enable_ifIXoont18rocblas_is_complexIT_E18rocblas_is_complexIT1_EEiE4typeELi0EEEvPS7_llT2_lT0_lSC_b.uses_vcc, 1
	.set _ZN9rocsolver6v33100L8set_diagIflfPKPfTnNSt9enable_ifIXoont18rocblas_is_complexIT_E18rocblas_is_complexIT1_EEiE4typeELi0EEEvPS7_llT2_lT0_lSC_b.uses_flat_scratch, 0
	.set _ZN9rocsolver6v33100L8set_diagIflfPKPfTnNSt9enable_ifIXoont18rocblas_is_complexIT_E18rocblas_is_complexIT1_EEiE4typeELi0EEEvPS7_llT2_lT0_lSC_b.has_dyn_sized_stack, 0
	.set _ZN9rocsolver6v33100L8set_diagIflfPKPfTnNSt9enable_ifIXoont18rocblas_is_complexIT_E18rocblas_is_complexIT1_EEiE4typeELi0EEEvPS7_llT2_lT0_lSC_b.has_recursion, 0
	.set _ZN9rocsolver6v33100L8set_diagIflfPKPfTnNSt9enable_ifIXoont18rocblas_is_complexIT_E18rocblas_is_complexIT1_EEiE4typeELi0EEEvPS7_llT2_lT0_lSC_b.has_indirect_call, 0
	.section	.AMDGPU.csdata,"",@progbits
; Kernel info:
; codeLenInByte = 252
; TotalNumSgprs: 24
; NumVgprs: 6
; NumAgprs: 0
; TotalNumVgprs: 6
; ScratchSize: 0
; MemoryBound: 0
; FloatMode: 240
; IeeeMode: 1
; LDSByteSize: 0 bytes/workgroup (compile time only)
; SGPRBlocks: 2
; VGPRBlocks: 0
; NumSGPRsForWavesPerEU: 24
; NumVGPRsForWavesPerEU: 6
; AccumOffset: 8
; Occupancy: 8
; WaveLimiterHint : 1
; COMPUTE_PGM_RSRC2:SCRATCH_EN: 0
; COMPUTE_PGM_RSRC2:USER_SGPR: 2
; COMPUTE_PGM_RSRC2:TRAP_HANDLER: 0
; COMPUTE_PGM_RSRC2:TGID_X_EN: 1
; COMPUTE_PGM_RSRC2:TGID_Y_EN: 1
; COMPUTE_PGM_RSRC2:TGID_Z_EN: 0
; COMPUTE_PGM_RSRC2:TIDIG_COMP_CNT: 1
; COMPUTE_PGM_RSRC3_GFX90A:ACCUM_OFFSET: 1
; COMPUTE_PGM_RSRC3_GFX90A:TG_SPLIT: 0
	.section	.text._ZN9rocsolver6v33100L11set_taubetaIflfPKPfEEvPT_lS6_T2_llPT1_ll,"axG",@progbits,_ZN9rocsolver6v33100L11set_taubetaIflfPKPfEEvPT_lS6_T2_llPT1_ll,comdat
	.globl	_ZN9rocsolver6v33100L11set_taubetaIflfPKPfEEvPT_lS6_T2_llPT1_ll ; -- Begin function _ZN9rocsolver6v33100L11set_taubetaIflfPKPfEEvPT_lS6_T2_llPT1_ll
	.p2align	8
	.type	_ZN9rocsolver6v33100L11set_taubetaIflfPKPfEEvPT_lS6_T2_llPT1_ll,@function
_ZN9rocsolver6v33100L11set_taubetaIflfPKPfEEvPT_lS6_T2_llPT1_ll: ; @_ZN9rocsolver6v33100L11set_taubetaIflfPKPfEEvPT_lS6_T2_llPT1_ll
; %bb.0:
	s_load_dwordx8 s[4:11], s[0:1], 0x0
	s_load_dwordx2 s[20:21], s[0:1], 0x20
	s_load_dwordx4 s[12:15], s[0:1], 0x30
	s_mov_b32 s3, 0
	s_lshl_b64 s[16:17], s[2:3], 3
	s_waitcnt lgkmcnt(0)
	s_add_u32 s10, s10, s16
	s_addc_u32 s11, s11, s17
	s_load_dwordx2 s[10:11], s[10:11], 0x0
	s_mov_b64 s[18:19], 0
	s_cmp_eq_u64 s[12:13], 0
	s_mov_b64 s[16:17], 0
	s_cbranch_scc1 .LBB42_2
; %bb.1:
	s_load_dwordx2 s[0:1], s[0:1], 0x40
	s_waitcnt lgkmcnt(0)
	s_mul_i32 s1, s1, s2
	s_mul_hi_u32 s16, s0, s2
	s_mul_i32 s0, s0, s2
	s_add_i32 s1, s16, s1
	s_lshl_b64 s[0:1], s[0:1], 2
	s_add_u32 s12, s12, s0
	s_addc_u32 s13, s13, s1
	s_lshl_b64 s[0:1], s[14:15], 2
	s_add_u32 s16, s12, s0
	s_addc_u32 s17, s13, s1
.LBB42_2:
	s_lshl_b64 s[0:1], s[20:21], 2
	s_waitcnt lgkmcnt(0)
	s_add_u32 s10, s10, s0
	s_addc_u32 s11, s11, s1
	s_mul_i32 s0, s7, s2
	s_mul_hi_u32 s1, s6, s2
	s_add_i32 s1, s1, s0
	s_mul_i32 s0, s6, s2
	s_lshl_b64 s[0:1], s[0:1], 2
	s_add_u32 s4, s4, s0
	s_addc_u32 s5, s5, s1
	s_lshl_b64 s[0:1], s[2:3], 2
	s_add_u32 s8, s8, s0
	s_addc_u32 s9, s9, s1
	s_load_dword s12, s[8:9], 0x0
	s_cmp_eq_u64 s[16:17], 0
	s_cselect_b64 s[2:3], -1, 0
	s_cmp_lg_u64 s[16:17], 0
	s_cselect_b64 s[6:7], -1, 0
	s_waitcnt lgkmcnt(0)
	v_cmp_ngt_f32_e64 s[0:1], s12, 0
	s_and_b64 vcc, exec, s[0:1]
	s_cbranch_vccz .LBB42_7
; %bb.3:
	v_mov_b32_e32 v0, 1.0
	v_mov_b32_e32 v1, 0
	s_mov_b64 s[0:1], 0
	s_and_b64 vcc, exec, s[6:7]
	global_store_dword v1, v0, s[8:9]
	global_store_dword v1, v1, s[4:5]
                                        ; implicit-def: $vgpr0
	s_cbranch_vccz .LBB42_5
; %bb.4:
	v_mov_b64_e32 v[0:1], s[10:11]
	flat_load_dword v0, v[0:1]
	s_mov_b64 s[18:19], -1
.LBB42_5:
	s_and_b64 vcc, exec, s[0:1]
	s_cbranch_vccz .LBB42_8
.LBB42_6:
	v_mov_b64_e32 v[2:3], s[10:11]
	flat_load_dword v1, v[2:3]
	s_mov_b32 s0, 0xf800000
	v_mov_b32_e32 v5, 0x260
	s_mov_b64 s[18:19], s[6:7]
	s_waitcnt vmcnt(0) lgkmcnt(0)
	v_fma_f32 v0, v1, v1, s12
	v_mul_f32_e32 v4, 0x4f800000, v0
	v_cmp_gt_f32_e32 vcc, s0, v0
	s_nop 1
	v_cndmask_b32_e32 v0, v0, v4, vcc
	v_sqrt_f32_e32 v4, v0
	s_nop 0
	v_add_u32_e32 v6, -1, v4
	v_add_u32_e32 v7, 1, v4
	v_fma_f32 v8, -v6, v4, v0
	v_fma_f32 v9, -v7, v4, v0
	v_cmp_ge_f32_e64 s[0:1], 0, v8
	s_nop 1
	v_cndmask_b32_e64 v4, v4, v6, s[0:1]
	v_cmp_lt_f32_e64 s[0:1], 0, v9
	s_nop 1
	v_cndmask_b32_e64 v4, v4, v7, s[0:1]
	v_mul_f32_e32 v6, 0x37800000, v4
	v_cndmask_b32_e32 v4, v4, v6, vcc
	v_cmp_class_f32_e32 vcc, v0, v5
	v_mov_b32_e32 v6, 0
	s_nop 0
	v_cndmask_b32_e32 v0, v4, v0, vcc
	v_cmp_le_f32_e32 vcc, 0, v1
	s_nop 1
	v_cndmask_b32_e64 v0, v0, -v0, vcc
	v_sub_f32_e32 v1, v1, v0
	v_div_scale_f32 v4, s[0:1], v1, v1, 1.0
	v_rcp_f32_e32 v5, v4
	v_div_scale_f32 v7, vcc, 1.0, v1, 1.0
	v_fma_f32 v8, -v4, v5, 1.0
	v_fmac_f32_e32 v5, v8, v5
	v_mul_f32_e32 v8, v7, v5
	v_fma_f32 v9, -v4, v8, v7
	v_fmac_f32_e32 v8, v9, v5
	v_fma_f32 v4, -v4, v8, v7
	v_div_fmas_f32 v4, v4, v5, v8
	v_div_fixup_f32 v1, v4, v1, 1.0
	global_store_dword v6, v1, s[8:9]
	flat_load_dword v1, v[2:3]
	s_waitcnt vmcnt(0) lgkmcnt(0)
	v_sub_f32_e32 v1, v0, v1
	v_div_scale_f32 v2, s[0:1], v0, v0, v1
	v_rcp_f32_e32 v3, v2
	v_div_scale_f32 v4, vcc, v1, v0, v1
	v_fma_f32 v5, -v2, v3, 1.0
	v_fmac_f32_e32 v3, v5, v3
	v_mul_f32_e32 v5, v4, v3
	v_fma_f32 v7, -v2, v5, v4
	v_fmac_f32_e32 v5, v7, v3
	v_fma_f32 v2, -v2, v5, v4
	v_div_fmas_f32 v2, v2, v3, v5
	v_div_fixup_f32 v1, v2, v0, v1
	global_store_dword v6, v1, s[4:5]
	s_andn2_b64 vcc, exec, s[18:19]
	s_cbranch_vccz .LBB42_9
	s_branch .LBB42_10
.LBB42_7:
                                        ; implicit-def: $vgpr0
	s_cbranch_execnz .LBB42_6
.LBB42_8:
	s_mov_b64 s[2:3], 0
	s_andn2_b64 vcc, exec, s[18:19]
	s_cbranch_vccnz .LBB42_10
.LBB42_9:
	v_mov_b32_e32 v1, 0
	s_waitcnt vmcnt(0) lgkmcnt(0)
	global_store_dword v1, v0, s[16:17]
	s_mov_b64 s[2:3], -1
	v_mov_b32_e32 v0, 1.0
.LBB42_10:
	s_andn2_b64 vcc, exec, s[2:3]
	s_cbranch_vccz .LBB42_12
; %bb.11:
	s_endpgm
.LBB42_12:
	v_mov_b64_e32 v[2:3], s[10:11]
	s_waitcnt vmcnt(0) lgkmcnt(0)
	flat_store_dword v[2:3], v0
	s_endpgm
	.section	.rodata,"a",@progbits
	.p2align	6, 0x0
	.amdhsa_kernel _ZN9rocsolver6v33100L11set_taubetaIflfPKPfEEvPT_lS6_T2_llPT1_ll
		.amdhsa_group_segment_fixed_size 0
		.amdhsa_private_segment_fixed_size 0
		.amdhsa_kernarg_size 72
		.amdhsa_user_sgpr_count 2
		.amdhsa_user_sgpr_dispatch_ptr 0
		.amdhsa_user_sgpr_queue_ptr 0
		.amdhsa_user_sgpr_kernarg_segment_ptr 1
		.amdhsa_user_sgpr_dispatch_id 0
		.amdhsa_user_sgpr_kernarg_preload_length 0
		.amdhsa_user_sgpr_kernarg_preload_offset 0
		.amdhsa_user_sgpr_private_segment_size 0
		.amdhsa_uses_dynamic_stack 0
		.amdhsa_enable_private_segment 0
		.amdhsa_system_sgpr_workgroup_id_x 1
		.amdhsa_system_sgpr_workgroup_id_y 0
		.amdhsa_system_sgpr_workgroup_id_z 0
		.amdhsa_system_sgpr_workgroup_info 0
		.amdhsa_system_vgpr_workitem_id 0
		.amdhsa_next_free_vgpr 10
		.amdhsa_next_free_sgpr 22
		.amdhsa_accum_offset 12
		.amdhsa_reserve_vcc 1
		.amdhsa_float_round_mode_32 0
		.amdhsa_float_round_mode_16_64 0
		.amdhsa_float_denorm_mode_32 3
		.amdhsa_float_denorm_mode_16_64 3
		.amdhsa_dx10_clamp 1
		.amdhsa_ieee_mode 1
		.amdhsa_fp16_overflow 0
		.amdhsa_tg_split 0
		.amdhsa_exception_fp_ieee_invalid_op 0
		.amdhsa_exception_fp_denorm_src 0
		.amdhsa_exception_fp_ieee_div_zero 0
		.amdhsa_exception_fp_ieee_overflow 0
		.amdhsa_exception_fp_ieee_underflow 0
		.amdhsa_exception_fp_ieee_inexact 0
		.amdhsa_exception_int_div_zero 0
	.end_amdhsa_kernel
	.section	.text._ZN9rocsolver6v33100L11set_taubetaIflfPKPfEEvPT_lS6_T2_llPT1_ll,"axG",@progbits,_ZN9rocsolver6v33100L11set_taubetaIflfPKPfEEvPT_lS6_T2_llPT1_ll,comdat
.Lfunc_end42:
	.size	_ZN9rocsolver6v33100L11set_taubetaIflfPKPfEEvPT_lS6_T2_llPT1_ll, .Lfunc_end42-_ZN9rocsolver6v33100L11set_taubetaIflfPKPfEEvPT_lS6_T2_llPT1_ll
                                        ; -- End function
	.set _ZN9rocsolver6v33100L11set_taubetaIflfPKPfEEvPT_lS6_T2_llPT1_ll.num_vgpr, 10
	.set _ZN9rocsolver6v33100L11set_taubetaIflfPKPfEEvPT_lS6_T2_llPT1_ll.num_agpr, 0
	.set _ZN9rocsolver6v33100L11set_taubetaIflfPKPfEEvPT_lS6_T2_llPT1_ll.numbered_sgpr, 22
	.set _ZN9rocsolver6v33100L11set_taubetaIflfPKPfEEvPT_lS6_T2_llPT1_ll.num_named_barrier, 0
	.set _ZN9rocsolver6v33100L11set_taubetaIflfPKPfEEvPT_lS6_T2_llPT1_ll.private_seg_size, 0
	.set _ZN9rocsolver6v33100L11set_taubetaIflfPKPfEEvPT_lS6_T2_llPT1_ll.uses_vcc, 1
	.set _ZN9rocsolver6v33100L11set_taubetaIflfPKPfEEvPT_lS6_T2_llPT1_ll.uses_flat_scratch, 0
	.set _ZN9rocsolver6v33100L11set_taubetaIflfPKPfEEvPT_lS6_T2_llPT1_ll.has_dyn_sized_stack, 0
	.set _ZN9rocsolver6v33100L11set_taubetaIflfPKPfEEvPT_lS6_T2_llPT1_ll.has_recursion, 0
	.set _ZN9rocsolver6v33100L11set_taubetaIflfPKPfEEvPT_lS6_T2_llPT1_ll.has_indirect_call, 0
	.section	.AMDGPU.csdata,"",@progbits
; Kernel info:
; codeLenInByte = 724
; TotalNumSgprs: 28
; NumVgprs: 10
; NumAgprs: 0
; TotalNumVgprs: 10
; ScratchSize: 0
; MemoryBound: 0
; FloatMode: 240
; IeeeMode: 1
; LDSByteSize: 0 bytes/workgroup (compile time only)
; SGPRBlocks: 3
; VGPRBlocks: 1
; NumSGPRsForWavesPerEU: 28
; NumVGPRsForWavesPerEU: 10
; AccumOffset: 12
; Occupancy: 8
; WaveLimiterHint : 1
; COMPUTE_PGM_RSRC2:SCRATCH_EN: 0
; COMPUTE_PGM_RSRC2:USER_SGPR: 2
; COMPUTE_PGM_RSRC2:TRAP_HANDLER: 0
; COMPUTE_PGM_RSRC2:TGID_X_EN: 1
; COMPUTE_PGM_RSRC2:TGID_Y_EN: 0
; COMPUTE_PGM_RSRC2:TGID_Z_EN: 0
; COMPUTE_PGM_RSRC2:TIDIG_COMP_CNT: 0
; COMPUTE_PGM_RSRC3_GFX90A:ACCUM_OFFSET: 2
; COMPUTE_PGM_RSRC3_GFX90A:TG_SPLIT: 0
	.section	.text._ZN9rocsolver6v33100L13conj_in_placeIflPfTnNSt9enable_ifIXnt18rocblas_is_complexIT_EEiE4typeELi0EEEvT0_S7_T1_lS7_l,"axG",@progbits,_ZN9rocsolver6v33100L13conj_in_placeIflPfTnNSt9enable_ifIXnt18rocblas_is_complexIT_EEiE4typeELi0EEEvT0_S7_T1_lS7_l,comdat
	.globl	_ZN9rocsolver6v33100L13conj_in_placeIflPfTnNSt9enable_ifIXnt18rocblas_is_complexIT_EEiE4typeELi0EEEvT0_S7_T1_lS7_l ; -- Begin function _ZN9rocsolver6v33100L13conj_in_placeIflPfTnNSt9enable_ifIXnt18rocblas_is_complexIT_EEiE4typeELi0EEEvT0_S7_T1_lS7_l
	.p2align	8
	.type	_ZN9rocsolver6v33100L13conj_in_placeIflPfTnNSt9enable_ifIXnt18rocblas_is_complexIT_EEiE4typeELi0EEEvT0_S7_T1_lS7_l,@function
_ZN9rocsolver6v33100L13conj_in_placeIflPfTnNSt9enable_ifIXnt18rocblas_is_complexIT_EEiE4typeELi0EEEvT0_S7_T1_lS7_l: ; @_ZN9rocsolver6v33100L13conj_in_placeIflPfTnNSt9enable_ifIXnt18rocblas_is_complexIT_EEiE4typeELi0EEEvT0_S7_T1_lS7_l
; %bb.0:
	s_endpgm
	.section	.rodata,"a",@progbits
	.p2align	6, 0x0
	.amdhsa_kernel _ZN9rocsolver6v33100L13conj_in_placeIflPfTnNSt9enable_ifIXnt18rocblas_is_complexIT_EEiE4typeELi0EEEvT0_S7_T1_lS7_l
		.amdhsa_group_segment_fixed_size 0
		.amdhsa_private_segment_fixed_size 0
		.amdhsa_kernarg_size 48
		.amdhsa_user_sgpr_count 2
		.amdhsa_user_sgpr_dispatch_ptr 0
		.amdhsa_user_sgpr_queue_ptr 0
		.amdhsa_user_sgpr_kernarg_segment_ptr 1
		.amdhsa_user_sgpr_dispatch_id 0
		.amdhsa_user_sgpr_kernarg_preload_length 0
		.amdhsa_user_sgpr_kernarg_preload_offset 0
		.amdhsa_user_sgpr_private_segment_size 0
		.amdhsa_uses_dynamic_stack 0
		.amdhsa_enable_private_segment 0
		.amdhsa_system_sgpr_workgroup_id_x 1
		.amdhsa_system_sgpr_workgroup_id_y 0
		.amdhsa_system_sgpr_workgroup_id_z 0
		.amdhsa_system_sgpr_workgroup_info 0
		.amdhsa_system_vgpr_workitem_id 0
		.amdhsa_next_free_vgpr 1
		.amdhsa_next_free_sgpr 0
		.amdhsa_accum_offset 4
		.amdhsa_reserve_vcc 0
		.amdhsa_float_round_mode_32 0
		.amdhsa_float_round_mode_16_64 0
		.amdhsa_float_denorm_mode_32 3
		.amdhsa_float_denorm_mode_16_64 3
		.amdhsa_dx10_clamp 1
		.amdhsa_ieee_mode 1
		.amdhsa_fp16_overflow 0
		.amdhsa_tg_split 0
		.amdhsa_exception_fp_ieee_invalid_op 0
		.amdhsa_exception_fp_denorm_src 0
		.amdhsa_exception_fp_ieee_div_zero 0
		.amdhsa_exception_fp_ieee_overflow 0
		.amdhsa_exception_fp_ieee_underflow 0
		.amdhsa_exception_fp_ieee_inexact 0
		.amdhsa_exception_int_div_zero 0
	.end_amdhsa_kernel
	.section	.text._ZN9rocsolver6v33100L13conj_in_placeIflPfTnNSt9enable_ifIXnt18rocblas_is_complexIT_EEiE4typeELi0EEEvT0_S7_T1_lS7_l,"axG",@progbits,_ZN9rocsolver6v33100L13conj_in_placeIflPfTnNSt9enable_ifIXnt18rocblas_is_complexIT_EEiE4typeELi0EEEvT0_S7_T1_lS7_l,comdat
.Lfunc_end43:
	.size	_ZN9rocsolver6v33100L13conj_in_placeIflPfTnNSt9enable_ifIXnt18rocblas_is_complexIT_EEiE4typeELi0EEEvT0_S7_T1_lS7_l, .Lfunc_end43-_ZN9rocsolver6v33100L13conj_in_placeIflPfTnNSt9enable_ifIXnt18rocblas_is_complexIT_EEiE4typeELi0EEEvT0_S7_T1_lS7_l
                                        ; -- End function
	.set _ZN9rocsolver6v33100L13conj_in_placeIflPfTnNSt9enable_ifIXnt18rocblas_is_complexIT_EEiE4typeELi0EEEvT0_S7_T1_lS7_l.num_vgpr, 0
	.set _ZN9rocsolver6v33100L13conj_in_placeIflPfTnNSt9enable_ifIXnt18rocblas_is_complexIT_EEiE4typeELi0EEEvT0_S7_T1_lS7_l.num_agpr, 0
	.set _ZN9rocsolver6v33100L13conj_in_placeIflPfTnNSt9enable_ifIXnt18rocblas_is_complexIT_EEiE4typeELi0EEEvT0_S7_T1_lS7_l.numbered_sgpr, 0
	.set _ZN9rocsolver6v33100L13conj_in_placeIflPfTnNSt9enable_ifIXnt18rocblas_is_complexIT_EEiE4typeELi0EEEvT0_S7_T1_lS7_l.num_named_barrier, 0
	.set _ZN9rocsolver6v33100L13conj_in_placeIflPfTnNSt9enable_ifIXnt18rocblas_is_complexIT_EEiE4typeELi0EEEvT0_S7_T1_lS7_l.private_seg_size, 0
	.set _ZN9rocsolver6v33100L13conj_in_placeIflPfTnNSt9enable_ifIXnt18rocblas_is_complexIT_EEiE4typeELi0EEEvT0_S7_T1_lS7_l.uses_vcc, 0
	.set _ZN9rocsolver6v33100L13conj_in_placeIflPfTnNSt9enable_ifIXnt18rocblas_is_complexIT_EEiE4typeELi0EEEvT0_S7_T1_lS7_l.uses_flat_scratch, 0
	.set _ZN9rocsolver6v33100L13conj_in_placeIflPfTnNSt9enable_ifIXnt18rocblas_is_complexIT_EEiE4typeELi0EEEvT0_S7_T1_lS7_l.has_dyn_sized_stack, 0
	.set _ZN9rocsolver6v33100L13conj_in_placeIflPfTnNSt9enable_ifIXnt18rocblas_is_complexIT_EEiE4typeELi0EEEvT0_S7_T1_lS7_l.has_recursion, 0
	.set _ZN9rocsolver6v33100L13conj_in_placeIflPfTnNSt9enable_ifIXnt18rocblas_is_complexIT_EEiE4typeELi0EEEvT0_S7_T1_lS7_l.has_indirect_call, 0
	.section	.AMDGPU.csdata,"",@progbits
; Kernel info:
; codeLenInByte = 4
; TotalNumSgprs: 6
; NumVgprs: 0
; NumAgprs: 0
; TotalNumVgprs: 0
; ScratchSize: 0
; MemoryBound: 0
; FloatMode: 240
; IeeeMode: 1
; LDSByteSize: 0 bytes/workgroup (compile time only)
; SGPRBlocks: 0
; VGPRBlocks: 0
; NumSGPRsForWavesPerEU: 6
; NumVGPRsForWavesPerEU: 1
; AccumOffset: 4
; Occupancy: 8
; WaveLimiterHint : 0
; COMPUTE_PGM_RSRC2:SCRATCH_EN: 0
; COMPUTE_PGM_RSRC2:USER_SGPR: 2
; COMPUTE_PGM_RSRC2:TRAP_HANDLER: 0
; COMPUTE_PGM_RSRC2:TGID_X_EN: 1
; COMPUTE_PGM_RSRC2:TGID_Y_EN: 0
; COMPUTE_PGM_RSRC2:TGID_Z_EN: 0
; COMPUTE_PGM_RSRC2:TIDIG_COMP_CNT: 0
; COMPUTE_PGM_RSRC3_GFX90A:ACCUM_OFFSET: 0
; COMPUTE_PGM_RSRC3_GFX90A:TG_SPLIT: 0
	.section	.text._ZN9rocsolver6v33100L16larf_left_kernelILi1024EflPKPfEEvT1_S5_T2_lS5_lPKT0_lS6_lS5_l,"axG",@progbits,_ZN9rocsolver6v33100L16larf_left_kernelILi1024EflPKPfEEvT1_S5_T2_lS5_lPKT0_lS6_lS5_l,comdat
	.globl	_ZN9rocsolver6v33100L16larf_left_kernelILi1024EflPKPfEEvT1_S5_T2_lS5_lPKT0_lS6_lS5_l ; -- Begin function _ZN9rocsolver6v33100L16larf_left_kernelILi1024EflPKPfEEvT1_S5_T2_lS5_lPKT0_lS6_lS5_l
	.p2align	8
	.type	_ZN9rocsolver6v33100L16larf_left_kernelILi1024EflPKPfEEvT1_S5_T2_lS5_lPKT0_lS6_lS5_l,@function
_ZN9rocsolver6v33100L16larf_left_kernelILi1024EflPKPfEEvT1_S5_T2_lS5_lPKT0_lS6_lS5_l: ; @_ZN9rocsolver6v33100L16larf_left_kernelILi1024EflPKPfEEvT1_S5_T2_lS5_lPKT0_lS6_lS5_l
; %bb.0:
	s_load_dwordx2 s[6:7], s[0:1], 0x0
	s_load_dwordx4 s[16:19], s[0:1], 0x10
	s_load_dwordx2 s[20:21], s[0:1], 0x20
	s_load_dwordx8 s[8:15], s[0:1], 0x30
	s_load_dwordx2 s[22:23], s[0:1], 0x50
	s_mov_b32 s5, 0
	s_lshl_b64 s[24:25], s[4:5], 3
	s_waitcnt lgkmcnt(0)
	s_add_u32 s0, s16, s24
	s_addc_u32 s1, s17, s25
	s_add_u32 s12, s12, s24
	s_addc_u32 s13, s13, s25
	s_load_dwordx2 s[12:13], s[12:13], 0x0
	v_cmp_gt_i64_e64 s[16:17], s[20:21], 0
	s_mov_b64 s[24:25], 0
	s_and_b64 vcc, exec, s[16:17]
	s_cbranch_vccnz .LBB44_2
; %bb.1:
	s_sub_u32 s2, 1, s6
	s_subb_u32 s5, 0, s7
	s_mul_i32 s5, s20, s5
	s_mul_hi_u32 s16, s20, s2
	s_add_i32 s5, s16, s5
	s_mul_i32 s16, s21, s2
	s_add_i32 s25, s5, s16
	s_mul_i32 s24, s20, s2
.LBB44_2:
	v_mov_b32_e32 v1, 0
	v_cmp_gt_i64_e32 vcc, s[6:7], v[0:1]
	v_lshlrev_b32_e32 v2, 2, v0
	s_mul_i32 s5, s23, s3
	s_mul_hi_u32 s26, s22, s3
	s_mul_i32 s2, s22, s3
	v_mov_b32_e32 v3, v1
	s_and_saveexec_b64 s[16:17], vcc
	s_cbranch_execz .LBB44_8
; %bb.3:
	s_load_dwordx2 s[0:1], s[0:1], 0x0
	v_mad_u64_u32 v[4:5], s[22:23], s20, v0, 0
	v_mov_b32_e32 v6, v5
	v_mad_u64_u32 v[6:7], s[22:23], s21, v0, v[6:7]
	s_lshl_b64 s[22:23], s[24:25], 2
	s_lshl_b64 s[18:19], s[18:19], 2
	s_waitcnt lgkmcnt(0)
	s_add_u32 s0, s0, s18
	s_addc_u32 s1, s1, s19
	s_add_u32 s0, s0, s22
	v_mov_b32_e32 v5, v6
	s_addc_u32 s1, s1, s23
	v_add3_u32 v8, v2, 0, 64
	v_lshl_add_u64 v[4:5], v[4:5], 2, s[0:1]
	s_lshl_b64 s[18:19], s[20:21], 12
	s_mov_b64 s[20:21], 0
	s_mov_b64 s[22:23], 0x400
	v_mov_b32_e32 v3, v8
	v_mov_b64_e32 v[6:7], v[0:1]
.LBB44_4:                               ; =>This Inner Loop Header: Depth=1
	flat_load_dword v9, v[4:5]
	v_lshl_add_u64 v[6:7], v[6:7], 0, s[22:23]
	v_cmp_le_i64_e64 s[0:1], s[6:7], v[6:7]
	v_lshl_add_u64 v[4:5], v[4:5], 0, s[18:19]
	s_or_b64 s[20:21], s[0:1], s[20:21]
	s_waitcnt vmcnt(0) lgkmcnt(0)
	ds_write_b32 v3, v9
	v_add_u32_e32 v3, 0x1000, v3
	s_andn2_b64 exec, exec, s[20:21]
	s_cbranch_execnz .LBB44_4
; %bb.5:
	s_or_b64 exec, exec, s[20:21]
	s_add_i32 s3, s26, s5
	s_lshl_b64 s[0:1], s[2:3], 2
	s_lshl_b64 s[18:19], s[14:15], 2
	s_add_u32 s0, s0, s18
	s_addc_u32 s1, s1, s19
	s_add_u32 s0, s12, s0
	v_mov_b32_e32 v3, 0
	s_addc_u32 s1, s13, s1
	v_lshl_add_u64 v[4:5], s[0:1], 0, v[2:3]
	s_mov_b64 s[18:19], 0
	s_mov_b64 s[20:21], 0x400
	;; [unrolled: 1-line block ×3, first 2 shown]
	v_mov_b64_e32 v[6:7], v[0:1]
.LBB44_6:                               ; =>This Inner Loop Header: Depth=1
	flat_load_dword v9, v[4:5]
	ds_read_b32 v10, v8
	v_lshl_add_u64 v[6:7], v[6:7], 0, s[20:21]
	v_cmp_le_i64_e64 s[0:1], s[6:7], v[6:7]
	v_lshl_add_u64 v[4:5], v[4:5], 0, s[22:23]
	v_add_u32_e32 v8, 0x1000, v8
	s_or_b64 s[18:19], s[0:1], s[18:19]
	s_waitcnt vmcnt(0) lgkmcnt(0)
	v_fmac_f32_e32 v3, v9, v10
	s_andn2_b64 exec, exec, s[18:19]
	s_cbranch_execnz .LBB44_6
; %bb.7:
	s_or_b64 exec, exec, s[18:19]
.LBB44_8:
	s_or_b64 exec, exec, s[16:17]
	v_mbcnt_lo_u32_b32 v4, -1, 0
	v_mbcnt_hi_u32_b32 v4, -1, v4
	v_and_b32_e32 v5, 63, v4
	v_cmp_ne_u32_e64 s[0:1], 63, v5
	s_nop 1
	v_addc_co_u32_e64 v6, s[0:1], 0, v4, s[0:1]
	v_lshlrev_b32_e32 v6, 2, v6
	ds_bpermute_b32 v6, v6, v3
	v_cmp_gt_u32_e64 s[0:1], 62, v5
	s_waitcnt lgkmcnt(0)
	v_add_f32_e32 v3, v3, v6
	v_cndmask_b32_e64 v7, 0, 2, s[0:1]
	v_add_lshl_u32 v6, v7, v4, 2
	ds_bpermute_b32 v6, v6, v3
	v_cmp_gt_u32_e64 s[0:1], 60, v5
	s_waitcnt lgkmcnt(0)
	v_add_f32_e32 v3, v3, v6
	v_cndmask_b32_e64 v7, 0, 4, s[0:1]
	v_add_lshl_u32 v7, v7, v4, 2
	;; [unrolled: 6-line block ×4, first 2 shown]
	ds_bpermute_b32 v5, v5, v3
	v_mov_b32_e32 v6, 0x80
	v_lshl_or_b32 v4, v4, 2, v6
	s_waitcnt lgkmcnt(0)
	v_add_f32_e32 v3, v3, v5
	ds_bpermute_b32 v4, v4, v3
	v_and_b32_e32 v5, 63, v0
	v_cmp_eq_u32_e64 s[0:1], 0, v5
	s_waitcnt lgkmcnt(0)
	v_add_f32_e32 v3, v3, v4
	s_and_saveexec_b64 s[16:17], s[0:1]
; %bb.9:
	v_lshrrev_b32_e32 v4, 4, v0
	v_add_u32_e32 v4, 0, v4
	ds_write_b32 v4, v3
; %bb.10:
	s_or_b64 exec, exec, s[16:17]
	v_cmp_eq_u32_e64 s[0:1], 0, v0
	s_waitcnt lgkmcnt(0)
	s_barrier
	s_and_saveexec_b64 s[16:17], s[0:1]
	s_cbranch_execz .LBB44_12
; %bb.11:
	v_mov_b32_e32 v14, 0
	ds_read2_b32 v[4:5], v14 offset0:1 offset1:2
	ds_read2_b32 v[6:7], v14 offset0:3 offset1:4
	;; [unrolled: 1-line block ×5, first 2 shown]
	s_waitcnt lgkmcnt(4)
	v_add_f32_e32 v3, v3, v4
	v_add_f32_e32 v3, v3, v5
	s_waitcnt lgkmcnt(3)
	v_add_f32_e32 v3, v3, v6
	v_add_f32_e32 v3, v3, v7
	;; [unrolled: 3-line block ×4, first 2 shown]
	ds_read2_b32 v[4:5], v14 offset0:11 offset1:12
	ds_read2_b32 v[6:7], v14 offset0:13 offset1:14
	ds_read_b32 v8, v14 offset:60
	s_waitcnt lgkmcnt(3)
	v_add_f32_e32 v3, v3, v12
	v_add_f32_e32 v3, v3, v13
	s_waitcnt lgkmcnt(2)
	v_add_f32_e32 v3, v3, v4
	v_add_f32_e32 v3, v3, v5
	;; [unrolled: 3-line block ×3, first 2 shown]
	s_waitcnt lgkmcnt(0)
	v_add_f32_e32 v3, v3, v8
	ds_write_b32 v14, v3
.LBB44_12:
	s_or_b64 exec, exec, s[16:17]
	s_waitcnt lgkmcnt(0)
	s_barrier
	s_and_saveexec_b64 s[0:1], vcc
	s_cbranch_execz .LBB44_15
; %bb.13:
	s_mul_i32 s0, s11, s4
	s_mul_hi_u32 s1, s10, s4
	s_add_i32 s1, s1, s0
	s_mul_i32 s0, s10, s4
	s_lshl_b64 s[0:1], s[0:1], 2
	s_add_u32 s0, s8, s0
	s_addc_u32 s1, s9, s1
	v_mov_b32_e32 v3, 0
	ds_read_b32 v4, v3
	s_load_dword s0, s[0:1], 0x0
	s_add_i32 s3, s26, s5
	s_mov_b64 s[4:5], 0x1000
	s_waitcnt lgkmcnt(0)
	v_mul_f32_e64 v6, v4, -s0
	s_lshl_b64 s[0:1], s[2:3], 2
	s_lshl_b64 s[2:3], s[14:15], 2
	s_add_u32 s0, s0, s2
	s_addc_u32 s1, s1, s3
	s_add_u32 s0, s12, s0
	s_addc_u32 s1, s13, s1
	v_lshl_add_u64 v[4:5], s[0:1], 0, v[2:3]
	v_add3_u32 v2, v2, 0, 64
	s_mov_b64 s[0:1], 0
	s_mov_b64 s[2:3], 0x400
.LBB44_14:                              ; =>This Inner Loop Header: Depth=1
	flat_load_dword v3, v[4:5]
	ds_read_b32 v7, v2
	v_lshl_add_u64 v[0:1], v[0:1], 0, s[2:3]
	v_cmp_le_i64_e32 vcc, s[6:7], v[0:1]
	s_or_b64 s[0:1], vcc, s[0:1]
	v_add_u32_e32 v2, 0x1000, v2
	s_waitcnt vmcnt(0) lgkmcnt(0)
	v_fmac_f32_e32 v3, v6, v7
	flat_store_dword v[4:5], v3
	v_lshl_add_u64 v[4:5], v[4:5], 0, s[4:5]
	s_andn2_b64 exec, exec, s[0:1]
	s_cbranch_execnz .LBB44_14
.LBB44_15:
	s_endpgm
	.section	.rodata,"a",@progbits
	.p2align	6, 0x0
	.amdhsa_kernel _ZN9rocsolver6v33100L16larf_left_kernelILi1024EflPKPfEEvT1_S5_T2_lS5_lPKT0_lS6_lS5_l
		.amdhsa_group_segment_fixed_size 0
		.amdhsa_private_segment_fixed_size 0
		.amdhsa_kernarg_size 96
		.amdhsa_user_sgpr_count 2
		.amdhsa_user_sgpr_dispatch_ptr 0
		.amdhsa_user_sgpr_queue_ptr 0
		.amdhsa_user_sgpr_kernarg_segment_ptr 1
		.amdhsa_user_sgpr_dispatch_id 0
		.amdhsa_user_sgpr_kernarg_preload_length 0
		.amdhsa_user_sgpr_kernarg_preload_offset 0
		.amdhsa_user_sgpr_private_segment_size 0
		.amdhsa_uses_dynamic_stack 0
		.amdhsa_enable_private_segment 0
		.amdhsa_system_sgpr_workgroup_id_x 1
		.amdhsa_system_sgpr_workgroup_id_y 1
		.amdhsa_system_sgpr_workgroup_id_z 1
		.amdhsa_system_sgpr_workgroup_info 0
		.amdhsa_system_vgpr_workitem_id 0
		.amdhsa_next_free_vgpr 15
		.amdhsa_next_free_sgpr 27
		.amdhsa_accum_offset 16
		.amdhsa_reserve_vcc 1
		.amdhsa_float_round_mode_32 0
		.amdhsa_float_round_mode_16_64 0
		.amdhsa_float_denorm_mode_32 3
		.amdhsa_float_denorm_mode_16_64 3
		.amdhsa_dx10_clamp 1
		.amdhsa_ieee_mode 1
		.amdhsa_fp16_overflow 0
		.amdhsa_tg_split 0
		.amdhsa_exception_fp_ieee_invalid_op 0
		.amdhsa_exception_fp_denorm_src 0
		.amdhsa_exception_fp_ieee_div_zero 0
		.amdhsa_exception_fp_ieee_overflow 0
		.amdhsa_exception_fp_ieee_underflow 0
		.amdhsa_exception_fp_ieee_inexact 0
		.amdhsa_exception_int_div_zero 0
	.end_amdhsa_kernel
	.section	.text._ZN9rocsolver6v33100L16larf_left_kernelILi1024EflPKPfEEvT1_S5_T2_lS5_lPKT0_lS6_lS5_l,"axG",@progbits,_ZN9rocsolver6v33100L16larf_left_kernelILi1024EflPKPfEEvT1_S5_T2_lS5_lPKT0_lS6_lS5_l,comdat
.Lfunc_end44:
	.size	_ZN9rocsolver6v33100L16larf_left_kernelILi1024EflPKPfEEvT1_S5_T2_lS5_lPKT0_lS6_lS5_l, .Lfunc_end44-_ZN9rocsolver6v33100L16larf_left_kernelILi1024EflPKPfEEvT1_S5_T2_lS5_lPKT0_lS6_lS5_l
                                        ; -- End function
	.set _ZN9rocsolver6v33100L16larf_left_kernelILi1024EflPKPfEEvT1_S5_T2_lS5_lPKT0_lS6_lS5_l.num_vgpr, 15
	.set _ZN9rocsolver6v33100L16larf_left_kernelILi1024EflPKPfEEvT1_S5_T2_lS5_lPKT0_lS6_lS5_l.num_agpr, 0
	.set _ZN9rocsolver6v33100L16larf_left_kernelILi1024EflPKPfEEvT1_S5_T2_lS5_lPKT0_lS6_lS5_l.numbered_sgpr, 27
	.set _ZN9rocsolver6v33100L16larf_left_kernelILi1024EflPKPfEEvT1_S5_T2_lS5_lPKT0_lS6_lS5_l.num_named_barrier, 0
	.set _ZN9rocsolver6v33100L16larf_left_kernelILi1024EflPKPfEEvT1_S5_T2_lS5_lPKT0_lS6_lS5_l.private_seg_size, 0
	.set _ZN9rocsolver6v33100L16larf_left_kernelILi1024EflPKPfEEvT1_S5_T2_lS5_lPKT0_lS6_lS5_l.uses_vcc, 1
	.set _ZN9rocsolver6v33100L16larf_left_kernelILi1024EflPKPfEEvT1_S5_T2_lS5_lPKT0_lS6_lS5_l.uses_flat_scratch, 0
	.set _ZN9rocsolver6v33100L16larf_left_kernelILi1024EflPKPfEEvT1_S5_T2_lS5_lPKT0_lS6_lS5_l.has_dyn_sized_stack, 0
	.set _ZN9rocsolver6v33100L16larf_left_kernelILi1024EflPKPfEEvT1_S5_T2_lS5_lPKT0_lS6_lS5_l.has_recursion, 0
	.set _ZN9rocsolver6v33100L16larf_left_kernelILi1024EflPKPfEEvT1_S5_T2_lS5_lPKT0_lS6_lS5_l.has_indirect_call, 0
	.section	.AMDGPU.csdata,"",@progbits
; Kernel info:
; codeLenInByte = 1172
; TotalNumSgprs: 33
; NumVgprs: 15
; NumAgprs: 0
; TotalNumVgprs: 15
; ScratchSize: 0
; MemoryBound: 0
; FloatMode: 240
; IeeeMode: 1
; LDSByteSize: 0 bytes/workgroup (compile time only)
; SGPRBlocks: 4
; VGPRBlocks: 1
; NumSGPRsForWavesPerEU: 33
; NumVGPRsForWavesPerEU: 15
; AccumOffset: 16
; Occupancy: 8
; WaveLimiterHint : 0
; COMPUTE_PGM_RSRC2:SCRATCH_EN: 0
; COMPUTE_PGM_RSRC2:USER_SGPR: 2
; COMPUTE_PGM_RSRC2:TRAP_HANDLER: 0
; COMPUTE_PGM_RSRC2:TGID_X_EN: 1
; COMPUTE_PGM_RSRC2:TGID_Y_EN: 1
; COMPUTE_PGM_RSRC2:TGID_Z_EN: 1
; COMPUTE_PGM_RSRC2:TIDIG_COMP_CNT: 0
; COMPUTE_PGM_RSRC3_GFX90A:ACCUM_OFFSET: 3
; COMPUTE_PGM_RSRC3_GFX90A:TG_SPLIT: 0
	.section	.text._ZN9rocsolver6v33100L17larf_right_kernelILi1024EflPKPfEEvT1_S5_T2_lS5_lPKT0_lS6_lS5_l,"axG",@progbits,_ZN9rocsolver6v33100L17larf_right_kernelILi1024EflPKPfEEvT1_S5_T2_lS5_lPKT0_lS6_lS5_l,comdat
	.globl	_ZN9rocsolver6v33100L17larf_right_kernelILi1024EflPKPfEEvT1_S5_T2_lS5_lPKT0_lS6_lS5_l ; -- Begin function _ZN9rocsolver6v33100L17larf_right_kernelILi1024EflPKPfEEvT1_S5_T2_lS5_lPKT0_lS6_lS5_l
	.p2align	8
	.type	_ZN9rocsolver6v33100L17larf_right_kernelILi1024EflPKPfEEvT1_S5_T2_lS5_lPKT0_lS6_lS5_l,@function
_ZN9rocsolver6v33100L17larf_right_kernelILi1024EflPKPfEEvT1_S5_T2_lS5_lPKT0_lS6_lS5_l: ; @_ZN9rocsolver6v33100L17larf_right_kernelILi1024EflPKPfEEvT1_S5_T2_lS5_lPKT0_lS6_lS5_l
; %bb.0:
	s_mov_b32 s2, s3
	s_load_dwordx8 s[8:15], s[0:1], 0x8
	s_load_dwordx8 s[16:23], s[0:1], 0x30
	s_load_dwordx2 s[6:7], s[0:1], 0x50
	s_mov_b32 s3, 0
	s_mov_b32 s5, s3
	s_lshl_b64 s[24:25], s[4:5], 3
	s_waitcnt lgkmcnt(0)
	s_add_u32 s0, s10, s24
	s_addc_u32 s1, s11, s25
	s_add_u32 s10, s20, s24
	s_addc_u32 s11, s21, s25
	s_load_dwordx2 s[10:11], s[10:11], 0x0
	v_cmp_gt_i64_e64 s[20:21], s[14:15], 0
	s_mov_b64 s[24:25], 0
	s_and_b64 vcc, exec, s[20:21]
	s_cbranch_vccnz .LBB45_2
; %bb.1:
	s_sub_u32 s5, 1, s8
	s_subb_u32 s20, 0, s9
	s_mul_i32 s20, s14, s20
	s_mul_hi_u32 s21, s14, s5
	s_add_i32 s20, s21, s20
	s_mul_i32 s21, s15, s5
	s_add_i32 s25, s20, s21
	s_mul_i32 s24, s14, s5
.LBB45_2:
	v_mov_b32_e32 v1, 0
	v_cmp_gt_i64_e32 vcc, s[8:9], v[0:1]
	v_lshlrev_b32_e32 v6, 2, v0
	v_mov_b32_e32 v8, v1
	s_and_saveexec_b64 s[20:21], vcc
	s_cbranch_execz .LBB45_8
; %bb.3:
	s_load_dwordx2 s[0:1], s[0:1], 0x0
	s_lshl_b64 s[24:25], s[24:25], 2
	s_lshl_b64 s[12:13], s[12:13], 2
	v_mad_u64_u32 v[2:3], s[26:27], s14, v0, 0
	s_waitcnt lgkmcnt(0)
	s_add_u32 s0, s0, s12
	v_mov_b32_e32 v4, v3
	s_addc_u32 s1, s1, s13
	v_mad_u64_u32 v[4:5], s[26:27], s15, v0, v[4:5]
	s_add_u32 s0, s0, s24
	v_mov_b32_e32 v3, v4
	s_addc_u32 s1, s1, s25
	v_add3_u32 v7, v6, 0, 64
	v_lshl_add_u64 v[2:3], v[2:3], 2, s[0:1]
	s_lshl_b64 s[12:13], s[14:15], 12
	s_mov_b64 s[14:15], 0
	s_mov_b64 s[24:25], 0x400
	v_mov_b32_e32 v8, v7
	v_mov_b64_e32 v[4:5], v[0:1]
.LBB45_4:                               ; =>This Inner Loop Header: Depth=1
	flat_load_dword v9, v[2:3]
	v_lshl_add_u64 v[4:5], v[4:5], 0, s[24:25]
	v_cmp_le_i64_e64 s[0:1], s[8:9], v[4:5]
	v_lshl_add_u64 v[2:3], v[2:3], 0, s[12:13]
	s_or_b64 s[14:15], s[0:1], s[14:15]
	s_waitcnt vmcnt(0) lgkmcnt(0)
	ds_write_b32 v8, v9
	v_add_u32_e32 v8, 0x1000, v8
	s_andn2_b64 exec, exec, s[14:15]
	s_cbranch_execnz .LBB45_4
; %bb.5:
	s_or_b64 exec, exec, s[14:15]
	v_mad_u64_u32 v[2:3], s[0:1], s6, v0, 0
	v_mov_b32_e32 v4, v3
	v_mad_u64_u32 v[4:5], s[0:1], s7, v0, v[4:5]
	s_lshl_b64 s[0:1], s[22:23], 2
	s_lshl_b64 s[12:13], s[2:3], 2
	s_add_u32 s5, s10, s12
	s_addc_u32 s12, s11, s13
	s_add_u32 s0, s5, s0
	v_mov_b32_e32 v3, v4
	s_addc_u32 s1, s12, s1
	v_lshl_add_u64 v[2:3], v[2:3], 2, s[0:1]
	s_lshl_b64 s[12:13], s[6:7], 12
	v_mov_b32_e32 v8, 0
	s_mov_b64 s[14:15], 0
	s_mov_b64 s[24:25], 0x400
	v_mov_b64_e32 v[4:5], v[0:1]
.LBB45_6:                               ; =>This Inner Loop Header: Depth=1
	flat_load_dword v9, v[2:3]
	ds_read_b32 v10, v7
	v_lshl_add_u64 v[4:5], v[4:5], 0, s[24:25]
	v_cmp_le_i64_e64 s[0:1], s[8:9], v[4:5]
	v_lshl_add_u64 v[2:3], v[2:3], 0, s[12:13]
	v_add_u32_e32 v7, 0x1000, v7
	s_or_b64 s[14:15], s[0:1], s[14:15]
	s_waitcnt vmcnt(0) lgkmcnt(0)
	v_fmac_f32_e32 v8, v9, v10
	s_andn2_b64 exec, exec, s[14:15]
	s_cbranch_execnz .LBB45_6
; %bb.7:
	s_or_b64 exec, exec, s[14:15]
.LBB45_8:
	s_or_b64 exec, exec, s[20:21]
	v_mbcnt_lo_u32_b32 v2, -1, 0
	v_mbcnt_hi_u32_b32 v2, -1, v2
	v_and_b32_e32 v3, 63, v2
	v_cmp_ne_u32_e64 s[0:1], 63, v3
	s_nop 1
	v_addc_co_u32_e64 v4, s[0:1], 0, v2, s[0:1]
	v_lshlrev_b32_e32 v4, 2, v4
	ds_bpermute_b32 v4, v4, v8
	v_cmp_gt_u32_e64 s[0:1], 62, v3
	s_waitcnt lgkmcnt(0)
	v_add_f32_e32 v4, v8, v4
	v_cndmask_b32_e64 v5, 0, 2, s[0:1]
	v_add_lshl_u32 v5, v5, v2, 2
	ds_bpermute_b32 v5, v5, v4
	v_cmp_gt_u32_e64 s[0:1], 60, v3
	s_waitcnt lgkmcnt(0)
	v_add_f32_e32 v4, v4, v5
	v_cndmask_b32_e64 v7, 0, 4, s[0:1]
	v_add_lshl_u32 v7, v7, v2, 2
	;; [unrolled: 6-line block ×4, first 2 shown]
	ds_bpermute_b32 v3, v3, v4
	v_mov_b32_e32 v5, 0x80
	v_lshl_or_b32 v2, v2, 2, v5
	s_waitcnt lgkmcnt(0)
	v_add_f32_e32 v3, v4, v3
	ds_bpermute_b32 v2, v2, v3
	v_and_b32_e32 v4, 63, v0
	v_cmp_eq_u32_e64 s[0:1], 0, v4
	s_waitcnt lgkmcnt(0)
	v_add_f32_e32 v2, v3, v2
	s_and_saveexec_b64 s[12:13], s[0:1]
; %bb.9:
	v_lshrrev_b32_e32 v3, 4, v0
	v_add_u32_e32 v3, 0, v3
	ds_write_b32 v3, v2
; %bb.10:
	s_or_b64 exec, exec, s[12:13]
	v_cmp_eq_u32_e64 s[0:1], 0, v0
	s_waitcnt lgkmcnt(0)
	s_barrier
	s_and_saveexec_b64 s[12:13], s[0:1]
	s_cbranch_execz .LBB45_12
; %bb.11:
	v_mov_b32_e32 v7, 0
	ds_read2_b32 v[4:5], v7 offset0:1 offset1:2
	ds_read2_b32 v[8:9], v7 offset0:3 offset1:4
	;; [unrolled: 1-line block ×5, first 2 shown]
	s_waitcnt lgkmcnt(4)
	v_add_f32_e32 v2, v2, v4
	v_add_f32_e32 v2, v2, v5
	s_waitcnt lgkmcnt(3)
	v_add_f32_e32 v2, v2, v8
	v_add_f32_e32 v2, v2, v9
	s_waitcnt lgkmcnt(2)
	v_add_f32_e32 v2, v2, v10
	v_add_f32_e32 v2, v2, v11
	s_waitcnt lgkmcnt(1)
	v_add_f32_e32 v2, v2, v12
	v_add_f32_e32 v8, v2, v13
	ds_read2_b32 v[2:3], v7 offset0:11 offset1:12
	ds_read2_b32 v[4:5], v7 offset0:13 offset1:14
	ds_read_b32 v9, v7 offset:60
	s_waitcnt lgkmcnt(3)
	v_add_f32_e32 v8, v8, v14
	v_add_f32_e32 v8, v8, v15
	s_waitcnt lgkmcnt(2)
	v_add_f32_e32 v2, v8, v2
	v_add_f32_e32 v2, v2, v3
	;; [unrolled: 3-line block ×3, first 2 shown]
	s_waitcnt lgkmcnt(0)
	v_add_f32_e32 v2, v2, v9
	ds_write_b32 v7, v2
.LBB45_12:
	s_or_b64 exec, exec, s[12:13]
	s_waitcnt lgkmcnt(0)
	s_barrier
	s_and_saveexec_b64 s[0:1], vcc
	s_cbranch_execz .LBB45_15
; %bb.13:
	s_mul_i32 s0, s19, s4
	s_mul_hi_u32 s1, s18, s4
	s_add_i32 s1, s1, s0
	s_mul_i32 s0, s18, s4
	s_lshl_b64 s[0:1], s[0:1], 2
	s_add_u32 s0, s16, s0
	s_addc_u32 s1, s17, s1
	v_mov_b32_e32 v2, 0
	ds_read_b32 v2, v2
	s_load_dword s0, s[0:1], 0x0
	s_lshl_b64 s[2:3], s[2:3], 2
	v_add3_u32 v5, v6, 0, 64
	s_mov_b64 s[4:5], 0x400
	s_waitcnt lgkmcnt(0)
	v_mul_f32_e64 v4, v2, -s0
	v_mad_u64_u32 v[2:3], s[0:1], s6, v0, 0
	v_mov_b32_e32 v8, v3
	v_mad_u64_u32 v[8:9], s[0:1], s7, v0, v[8:9]
	s_lshl_b64 s[0:1], s[22:23], 2
	s_add_u32 s2, s10, s2
	s_addc_u32 s3, s11, s3
	s_add_u32 s0, s2, s0
	v_mov_b32_e32 v3, v8
	s_addc_u32 s1, s3, s1
	v_lshl_add_u64 v[2:3], v[2:3], 2, s[0:1]
	s_lshl_b64 s[0:1], s[6:7], 12
	s_mov_b64 s[2:3], 0
.LBB45_14:                              ; =>This Inner Loop Header: Depth=1
	flat_load_dword v6, v[2:3]
	ds_read_b32 v7, v5
	v_lshl_add_u64 v[0:1], v[0:1], 0, s[4:5]
	v_cmp_le_i64_e32 vcc, s[8:9], v[0:1]
	s_or_b64 s[2:3], vcc, s[2:3]
	v_add_u32_e32 v5, 0x1000, v5
	s_waitcnt vmcnt(0) lgkmcnt(0)
	v_fmac_f32_e32 v6, v4, v7
	flat_store_dword v[2:3], v6
	v_lshl_add_u64 v[2:3], v[2:3], 0, s[0:1]
	s_andn2_b64 exec, exec, s[2:3]
	s_cbranch_execnz .LBB45_14
.LBB45_15:
	s_endpgm
	.section	.rodata,"a",@progbits
	.p2align	6, 0x0
	.amdhsa_kernel _ZN9rocsolver6v33100L17larf_right_kernelILi1024EflPKPfEEvT1_S5_T2_lS5_lPKT0_lS6_lS5_l
		.amdhsa_group_segment_fixed_size 0
		.amdhsa_private_segment_fixed_size 0
		.amdhsa_kernarg_size 96
		.amdhsa_user_sgpr_count 2
		.amdhsa_user_sgpr_dispatch_ptr 0
		.amdhsa_user_sgpr_queue_ptr 0
		.amdhsa_user_sgpr_kernarg_segment_ptr 1
		.amdhsa_user_sgpr_dispatch_id 0
		.amdhsa_user_sgpr_kernarg_preload_length 0
		.amdhsa_user_sgpr_kernarg_preload_offset 0
		.amdhsa_user_sgpr_private_segment_size 0
		.amdhsa_uses_dynamic_stack 0
		.amdhsa_enable_private_segment 0
		.amdhsa_system_sgpr_workgroup_id_x 1
		.amdhsa_system_sgpr_workgroup_id_y 1
		.amdhsa_system_sgpr_workgroup_id_z 1
		.amdhsa_system_sgpr_workgroup_info 0
		.amdhsa_system_vgpr_workitem_id 0
		.amdhsa_next_free_vgpr 16
		.amdhsa_next_free_sgpr 28
		.amdhsa_accum_offset 16
		.amdhsa_reserve_vcc 1
		.amdhsa_float_round_mode_32 0
		.amdhsa_float_round_mode_16_64 0
		.amdhsa_float_denorm_mode_32 3
		.amdhsa_float_denorm_mode_16_64 3
		.amdhsa_dx10_clamp 1
		.amdhsa_ieee_mode 1
		.amdhsa_fp16_overflow 0
		.amdhsa_tg_split 0
		.amdhsa_exception_fp_ieee_invalid_op 0
		.amdhsa_exception_fp_denorm_src 0
		.amdhsa_exception_fp_ieee_div_zero 0
		.amdhsa_exception_fp_ieee_overflow 0
		.amdhsa_exception_fp_ieee_underflow 0
		.amdhsa_exception_fp_ieee_inexact 0
		.amdhsa_exception_int_div_zero 0
	.end_amdhsa_kernel
	.section	.text._ZN9rocsolver6v33100L17larf_right_kernelILi1024EflPKPfEEvT1_S5_T2_lS5_lPKT0_lS6_lS5_l,"axG",@progbits,_ZN9rocsolver6v33100L17larf_right_kernelILi1024EflPKPfEEvT1_S5_T2_lS5_lPKT0_lS6_lS5_l,comdat
.Lfunc_end45:
	.size	_ZN9rocsolver6v33100L17larf_right_kernelILi1024EflPKPfEEvT1_S5_T2_lS5_lPKT0_lS6_lS5_l, .Lfunc_end45-_ZN9rocsolver6v33100L17larf_right_kernelILi1024EflPKPfEEvT1_S5_T2_lS5_lPKT0_lS6_lS5_l
                                        ; -- End function
	.set _ZN9rocsolver6v33100L17larf_right_kernelILi1024EflPKPfEEvT1_S5_T2_lS5_lPKT0_lS6_lS5_l.num_vgpr, 16
	.set _ZN9rocsolver6v33100L17larf_right_kernelILi1024EflPKPfEEvT1_S5_T2_lS5_lPKT0_lS6_lS5_l.num_agpr, 0
	.set _ZN9rocsolver6v33100L17larf_right_kernelILi1024EflPKPfEEvT1_S5_T2_lS5_lPKT0_lS6_lS5_l.numbered_sgpr, 28
	.set _ZN9rocsolver6v33100L17larf_right_kernelILi1024EflPKPfEEvT1_S5_T2_lS5_lPKT0_lS6_lS5_l.num_named_barrier, 0
	.set _ZN9rocsolver6v33100L17larf_right_kernelILi1024EflPKPfEEvT1_S5_T2_lS5_lPKT0_lS6_lS5_l.private_seg_size, 0
	.set _ZN9rocsolver6v33100L17larf_right_kernelILi1024EflPKPfEEvT1_S5_T2_lS5_lPKT0_lS6_lS5_l.uses_vcc, 1
	.set _ZN9rocsolver6v33100L17larf_right_kernelILi1024EflPKPfEEvT1_S5_T2_lS5_lPKT0_lS6_lS5_l.uses_flat_scratch, 0
	.set _ZN9rocsolver6v33100L17larf_right_kernelILi1024EflPKPfEEvT1_S5_T2_lS5_lPKT0_lS6_lS5_l.has_dyn_sized_stack, 0
	.set _ZN9rocsolver6v33100L17larf_right_kernelILi1024EflPKPfEEvT1_S5_T2_lS5_lPKT0_lS6_lS5_l.has_recursion, 0
	.set _ZN9rocsolver6v33100L17larf_right_kernelILi1024EflPKPfEEvT1_S5_T2_lS5_lPKT0_lS6_lS5_l.has_indirect_call, 0
	.section	.AMDGPU.csdata,"",@progbits
; Kernel info:
; codeLenInByte = 1184
; TotalNumSgprs: 34
; NumVgprs: 16
; NumAgprs: 0
; TotalNumVgprs: 16
; ScratchSize: 0
; MemoryBound: 0
; FloatMode: 240
; IeeeMode: 1
; LDSByteSize: 0 bytes/workgroup (compile time only)
; SGPRBlocks: 4
; VGPRBlocks: 1
; NumSGPRsForWavesPerEU: 34
; NumVGPRsForWavesPerEU: 16
; AccumOffset: 16
; Occupancy: 8
; WaveLimiterHint : 0
; COMPUTE_PGM_RSRC2:SCRATCH_EN: 0
; COMPUTE_PGM_RSRC2:USER_SGPR: 2
; COMPUTE_PGM_RSRC2:TRAP_HANDLER: 0
; COMPUTE_PGM_RSRC2:TGID_X_EN: 1
; COMPUTE_PGM_RSRC2:TGID_Y_EN: 1
; COMPUTE_PGM_RSRC2:TGID_Z_EN: 1
; COMPUTE_PGM_RSRC2:TIDIG_COMP_CNT: 0
; COMPUTE_PGM_RSRC3_GFX90A:ACCUM_OFFSET: 3
; COMPUTE_PGM_RSRC3_GFX90A:TG_SPLIT: 0
	.section	.text._ZN9rocsolver6v33100L9get_arrayIflEEvPPT_S3_lT0_,"axG",@progbits,_ZN9rocsolver6v33100L9get_arrayIflEEvPPT_S3_lT0_,comdat
	.globl	_ZN9rocsolver6v33100L9get_arrayIflEEvPPT_S3_lT0_ ; -- Begin function _ZN9rocsolver6v33100L9get_arrayIflEEvPPT_S3_lT0_
	.p2align	8
	.type	_ZN9rocsolver6v33100L9get_arrayIflEEvPPT_S3_lT0_,@function
_ZN9rocsolver6v33100L9get_arrayIflEEvPPT_S3_lT0_: ; @_ZN9rocsolver6v33100L9get_arrayIflEEvPPT_S3_lT0_
; %bb.0:
	s_load_dword s3, s[0:1], 0x2c
	s_load_dwordx8 s[4:11], s[0:1], 0x0
	v_mov_b32_e32 v1, 0
	v_mov_b32_e32 v2, s2
	s_waitcnt lgkmcnt(0)
	s_and_b32 s0, s3, 0xffff
	v_mad_u64_u32 v[0:1], s[0:1], s0, v2, v[0:1]
	v_cmp_gt_i64_e32 vcc, s[10:11], v[0:1]
	s_and_saveexec_b64 s[0:1], vcc
	s_cbranch_execz .LBB46_2
; %bb.1:
	v_mul_lo_u32 v8, v1, s8
	v_mul_lo_u32 v9, v0, s9
	v_mad_u64_u32 v[6:7], s[0:1], v0, s8, 0
	v_mov_b32_e32 v2, s4
	v_mov_b32_e32 v3, s5
	;; [unrolled: 1-line block ×4, first 2 shown]
	v_add3_u32 v7, v7, v9, v8
	v_lshl_add_u64 v[4:5], v[6:7], 2, v[4:5]
	v_lshl_add_u64 v[0:1], v[0:1], 3, v[2:3]
	global_store_dwordx2 v[0:1], v[4:5], off
.LBB46_2:
	s_endpgm
	.section	.rodata,"a",@progbits
	.p2align	6, 0x0
	.amdhsa_kernel _ZN9rocsolver6v33100L9get_arrayIflEEvPPT_S3_lT0_
		.amdhsa_group_segment_fixed_size 0
		.amdhsa_private_segment_fixed_size 0
		.amdhsa_kernarg_size 288
		.amdhsa_user_sgpr_count 2
		.amdhsa_user_sgpr_dispatch_ptr 0
		.amdhsa_user_sgpr_queue_ptr 0
		.amdhsa_user_sgpr_kernarg_segment_ptr 1
		.amdhsa_user_sgpr_dispatch_id 0
		.amdhsa_user_sgpr_kernarg_preload_length 0
		.amdhsa_user_sgpr_kernarg_preload_offset 0
		.amdhsa_user_sgpr_private_segment_size 0
		.amdhsa_uses_dynamic_stack 0
		.amdhsa_enable_private_segment 0
		.amdhsa_system_sgpr_workgroup_id_x 1
		.amdhsa_system_sgpr_workgroup_id_y 0
		.amdhsa_system_sgpr_workgroup_id_z 0
		.amdhsa_system_sgpr_workgroup_info 0
		.amdhsa_system_vgpr_workitem_id 0
		.amdhsa_next_free_vgpr 10
		.amdhsa_next_free_sgpr 12
		.amdhsa_accum_offset 12
		.amdhsa_reserve_vcc 1
		.amdhsa_float_round_mode_32 0
		.amdhsa_float_round_mode_16_64 0
		.amdhsa_float_denorm_mode_32 3
		.amdhsa_float_denorm_mode_16_64 3
		.amdhsa_dx10_clamp 1
		.amdhsa_ieee_mode 1
		.amdhsa_fp16_overflow 0
		.amdhsa_tg_split 0
		.amdhsa_exception_fp_ieee_invalid_op 0
		.amdhsa_exception_fp_denorm_src 0
		.amdhsa_exception_fp_ieee_div_zero 0
		.amdhsa_exception_fp_ieee_overflow 0
		.amdhsa_exception_fp_ieee_underflow 0
		.amdhsa_exception_fp_ieee_inexact 0
		.amdhsa_exception_int_div_zero 0
	.end_amdhsa_kernel
	.section	.text._ZN9rocsolver6v33100L9get_arrayIflEEvPPT_S3_lT0_,"axG",@progbits,_ZN9rocsolver6v33100L9get_arrayIflEEvPPT_S3_lT0_,comdat
.Lfunc_end46:
	.size	_ZN9rocsolver6v33100L9get_arrayIflEEvPPT_S3_lT0_, .Lfunc_end46-_ZN9rocsolver6v33100L9get_arrayIflEEvPPT_S3_lT0_
                                        ; -- End function
	.set _ZN9rocsolver6v33100L9get_arrayIflEEvPPT_S3_lT0_.num_vgpr, 10
	.set _ZN9rocsolver6v33100L9get_arrayIflEEvPPT_S3_lT0_.num_agpr, 0
	.set _ZN9rocsolver6v33100L9get_arrayIflEEvPPT_S3_lT0_.numbered_sgpr, 12
	.set _ZN9rocsolver6v33100L9get_arrayIflEEvPPT_S3_lT0_.num_named_barrier, 0
	.set _ZN9rocsolver6v33100L9get_arrayIflEEvPPT_S3_lT0_.private_seg_size, 0
	.set _ZN9rocsolver6v33100L9get_arrayIflEEvPPT_S3_lT0_.uses_vcc, 1
	.set _ZN9rocsolver6v33100L9get_arrayIflEEvPPT_S3_lT0_.uses_flat_scratch, 0
	.set _ZN9rocsolver6v33100L9get_arrayIflEEvPPT_S3_lT0_.has_dyn_sized_stack, 0
	.set _ZN9rocsolver6v33100L9get_arrayIflEEvPPT_S3_lT0_.has_recursion, 0
	.set _ZN9rocsolver6v33100L9get_arrayIflEEvPPT_S3_lT0_.has_indirect_call, 0
	.section	.AMDGPU.csdata,"",@progbits
; Kernel info:
; codeLenInByte = 132
; TotalNumSgprs: 18
; NumVgprs: 10
; NumAgprs: 0
; TotalNumVgprs: 10
; ScratchSize: 0
; MemoryBound: 0
; FloatMode: 240
; IeeeMode: 1
; LDSByteSize: 0 bytes/workgroup (compile time only)
; SGPRBlocks: 2
; VGPRBlocks: 1
; NumSGPRsForWavesPerEU: 18
; NumVGPRsForWavesPerEU: 10
; AccumOffset: 12
; Occupancy: 8
; WaveLimiterHint : 0
; COMPUTE_PGM_RSRC2:SCRATCH_EN: 0
; COMPUTE_PGM_RSRC2:USER_SGPR: 2
; COMPUTE_PGM_RSRC2:TRAP_HANDLER: 0
; COMPUTE_PGM_RSRC2:TGID_X_EN: 1
; COMPUTE_PGM_RSRC2:TGID_Y_EN: 0
; COMPUTE_PGM_RSRC2:TGID_Z_EN: 0
; COMPUTE_PGM_RSRC2:TIDIG_COMP_CNT: 0
; COMPUTE_PGM_RSRC3_GFX90A:ACCUM_OFFSET: 2
; COMPUTE_PGM_RSRC3_GFX90A:TG_SPLIT: 0
	.section	.text._ZN9rocsolver6v33100L12restore_diagIflfPKPfEEvPT1_llT2_lT0_lS8_,"axG",@progbits,_ZN9rocsolver6v33100L12restore_diagIflfPKPfEEvPT1_llT2_lT0_lS8_,comdat
	.globl	_ZN9rocsolver6v33100L12restore_diagIflfPKPfEEvPT1_llT2_lT0_lS8_ ; -- Begin function _ZN9rocsolver6v33100L12restore_diagIflfPKPfEEvPT1_llT2_lT0_lS8_
	.p2align	8
	.type	_ZN9rocsolver6v33100L12restore_diagIflfPKPfEEvPT1_llT2_lT0_lS8_,@function
_ZN9rocsolver6v33100L12restore_diagIflfPKPfEEvPT1_llT2_lT0_lS8_: ; @_ZN9rocsolver6v33100L12restore_diagIflfPKPfEEvPT1_llT2_lT0_lS8_
; %bb.0:
	s_load_dword s6, s[0:1], 0x4c
	s_load_dwordx2 s[4:5], s[0:1], 0x38
	v_bfe_u32 v0, v0, 10, 10
	v_mov_b32_e32 v1, 0
	s_waitcnt lgkmcnt(0)
	s_lshr_b32 s6, s6, 16
	s_mul_i32 s3, s3, s6
	v_add_u32_e32 v0, s3, v0
	v_cmp_gt_i64_e32 vcc, s[4:5], v[0:1]
	s_and_saveexec_b64 s[4:5], vcc
	s_cbranch_execz .LBB47_2
; %bb.1:
	s_load_dwordx8 s[8:15], s[0:1], 0x0
	s_load_dwordx4 s[4:7], s[0:1], 0x20
	s_mov_b32 s3, 0
	s_lshl_b64 s[0:1], s[2:3], 3
	s_waitcnt lgkmcnt(0)
	s_add_u32 s0, s14, s0
	s_addc_u32 s1, s15, s1
	s_load_dwordx2 s[0:1], s[0:1], 0x0
	s_lshl_b64 s[4:5], s[4:5], 2
	s_mul_i32 s3, s13, s2
	s_mul_hi_u32 s13, s12, s2
	s_mul_i32 s2, s12, s2
	s_waitcnt lgkmcnt(0)
	s_add_u32 s0, s0, s4
	s_addc_u32 s1, s1, s5
	s_add_i32 s3, s13, s3
	s_lshl_b64 s[2:3], s[2:3], 2
	s_add_u32 s4, s8, s2
	s_addc_u32 s5, s9, s3
	s_lshl_b64 s[2:3], s[10:11], 2
	s_add_u32 s2, s4, s2
	s_addc_u32 s3, s5, s3
	v_lshl_add_u64 v[2:3], v[0:1], 2, s[2:3]
	global_load_dword v5, v[2:3], off
	v_mad_u64_u32 v[2:3], s[2:3], v0, s6, v[0:1]
	v_mov_b32_e32 v4, v3
	s_waitcnt vmcnt(0)
	v_mad_u64_u32 v[0:1], s[2:3], v0, s7, v[4:5]
	v_mov_b32_e32 v3, v0
	v_lshl_add_u64 v[0:1], v[2:3], 2, s[0:1]
	flat_store_dword v[0:1], v5
.LBB47_2:
	s_endpgm
	.section	.rodata,"a",@progbits
	.p2align	6, 0x0
	.amdhsa_kernel _ZN9rocsolver6v33100L12restore_diagIflfPKPfEEvPT1_llT2_lT0_lS8_
		.amdhsa_group_segment_fixed_size 0
		.amdhsa_private_segment_fixed_size 0
		.amdhsa_kernarg_size 320
		.amdhsa_user_sgpr_count 2
		.amdhsa_user_sgpr_dispatch_ptr 0
		.amdhsa_user_sgpr_queue_ptr 0
		.amdhsa_user_sgpr_kernarg_segment_ptr 1
		.amdhsa_user_sgpr_dispatch_id 0
		.amdhsa_user_sgpr_kernarg_preload_length 0
		.amdhsa_user_sgpr_kernarg_preload_offset 0
		.amdhsa_user_sgpr_private_segment_size 0
		.amdhsa_uses_dynamic_stack 0
		.amdhsa_enable_private_segment 0
		.amdhsa_system_sgpr_workgroup_id_x 1
		.amdhsa_system_sgpr_workgroup_id_y 1
		.amdhsa_system_sgpr_workgroup_id_z 0
		.amdhsa_system_sgpr_workgroup_info 0
		.amdhsa_system_vgpr_workitem_id 1
		.amdhsa_next_free_vgpr 6
		.amdhsa_next_free_sgpr 16
		.amdhsa_accum_offset 8
		.amdhsa_reserve_vcc 1
		.amdhsa_float_round_mode_32 0
		.amdhsa_float_round_mode_16_64 0
		.amdhsa_float_denorm_mode_32 3
		.amdhsa_float_denorm_mode_16_64 3
		.amdhsa_dx10_clamp 1
		.amdhsa_ieee_mode 1
		.amdhsa_fp16_overflow 0
		.amdhsa_tg_split 0
		.amdhsa_exception_fp_ieee_invalid_op 0
		.amdhsa_exception_fp_denorm_src 0
		.amdhsa_exception_fp_ieee_div_zero 0
		.amdhsa_exception_fp_ieee_overflow 0
		.amdhsa_exception_fp_ieee_underflow 0
		.amdhsa_exception_fp_ieee_inexact 0
		.amdhsa_exception_int_div_zero 0
	.end_amdhsa_kernel
	.section	.text._ZN9rocsolver6v33100L12restore_diagIflfPKPfEEvPT1_llT2_lT0_lS8_,"axG",@progbits,_ZN9rocsolver6v33100L12restore_diagIflfPKPfEEvPT1_llT2_lT0_lS8_,comdat
.Lfunc_end47:
	.size	_ZN9rocsolver6v33100L12restore_diagIflfPKPfEEvPT1_llT2_lT0_lS8_, .Lfunc_end47-_ZN9rocsolver6v33100L12restore_diagIflfPKPfEEvPT1_llT2_lT0_lS8_
                                        ; -- End function
	.set _ZN9rocsolver6v33100L12restore_diagIflfPKPfEEvPT1_llT2_lT0_lS8_.num_vgpr, 6
	.set _ZN9rocsolver6v33100L12restore_diagIflfPKPfEEvPT1_llT2_lT0_lS8_.num_agpr, 0
	.set _ZN9rocsolver6v33100L12restore_diagIflfPKPfEEvPT1_llT2_lT0_lS8_.numbered_sgpr, 16
	.set _ZN9rocsolver6v33100L12restore_diagIflfPKPfEEvPT1_llT2_lT0_lS8_.num_named_barrier, 0
	.set _ZN9rocsolver6v33100L12restore_diagIflfPKPfEEvPT1_llT2_lT0_lS8_.private_seg_size, 0
	.set _ZN9rocsolver6v33100L12restore_diagIflfPKPfEEvPT1_llT2_lT0_lS8_.uses_vcc, 1
	.set _ZN9rocsolver6v33100L12restore_diagIflfPKPfEEvPT1_llT2_lT0_lS8_.uses_flat_scratch, 0
	.set _ZN9rocsolver6v33100L12restore_diagIflfPKPfEEvPT1_llT2_lT0_lS8_.has_dyn_sized_stack, 0
	.set _ZN9rocsolver6v33100L12restore_diagIflfPKPfEEvPT1_llT2_lT0_lS8_.has_recursion, 0
	.set _ZN9rocsolver6v33100L12restore_diagIflfPKPfEEvPT1_llT2_lT0_lS8_.has_indirect_call, 0
	.section	.AMDGPU.csdata,"",@progbits
; Kernel info:
; codeLenInByte = 220
; TotalNumSgprs: 22
; NumVgprs: 6
; NumAgprs: 0
; TotalNumVgprs: 6
; ScratchSize: 0
; MemoryBound: 0
; FloatMode: 240
; IeeeMode: 1
; LDSByteSize: 0 bytes/workgroup (compile time only)
; SGPRBlocks: 2
; VGPRBlocks: 0
; NumSGPRsForWavesPerEU: 22
; NumVGPRsForWavesPerEU: 6
; AccumOffset: 8
; Occupancy: 8
; WaveLimiterHint : 1
; COMPUTE_PGM_RSRC2:SCRATCH_EN: 0
; COMPUTE_PGM_RSRC2:USER_SGPR: 2
; COMPUTE_PGM_RSRC2:TRAP_HANDLER: 0
; COMPUTE_PGM_RSRC2:TGID_X_EN: 1
; COMPUTE_PGM_RSRC2:TGID_Y_EN: 1
; COMPUTE_PGM_RSRC2:TGID_Z_EN: 0
; COMPUTE_PGM_RSRC2:TIDIG_COMP_CNT: 1
; COMPUTE_PGM_RSRC3_GFX90A:ACCUM_OFFSET: 1
; COMPUTE_PGM_RSRC3_GFX90A:TG_SPLIT: 0
	.section	.text._ZN9rocsolver6v33100L18geqr2_kernel_smallILi256EdldPKPdEEvT1_S5_T3_lS5_lPT2_lPT0_l,"axG",@progbits,_ZN9rocsolver6v33100L18geqr2_kernel_smallILi256EdldPKPdEEvT1_S5_T3_lS5_lPT2_lPT0_l,comdat
	.globl	_ZN9rocsolver6v33100L18geqr2_kernel_smallILi256EdldPKPdEEvT1_S5_T3_lS5_lPT2_lPT0_l ; -- Begin function _ZN9rocsolver6v33100L18geqr2_kernel_smallILi256EdldPKPdEEvT1_S5_T3_lS5_lPT2_lPT0_l
	.p2align	8
	.type	_ZN9rocsolver6v33100L18geqr2_kernel_smallILi256EdldPKPdEEvT1_S5_T3_lS5_lPT2_lPT0_l,@function
_ZN9rocsolver6v33100L18geqr2_kernel_smallILi256EdldPKPdEEvT1_S5_T3_lS5_lPT2_lPT0_l: ; @_ZN9rocsolver6v33100L18geqr2_kernel_smallILi256EdldPKPdEEvT1_S5_T3_lS5_lPT2_lPT0_l
; %bb.0:
	s_load_dwordx8 s[12:19], s[0:1], 0x0
	s_load_dwordx2 s[10:11], s[0:1], 0x20
	s_mov_b32 s4, s3
	s_mov_b32 s5, 0
	s_lshl_b64 s[2:3], s[4:5], 3
	s_waitcnt lgkmcnt(0)
	s_add_u32 s2, s16, s2
	s_addc_u32 s3, s17, s3
	s_load_dwordx2 s[16:17], s[2:3], 0x0
	v_mov_b32_e32 v1, 0
	v_and_b32_e32 v2, 0x7f, v0
	v_mov_b32_e32 v3, v1
	v_cmp_gt_i64_e64 s[8:9], s[12:13], v[2:3]
	v_lshrrev_b32_e32 v4, 7, v0
	v_lshlrev_b32_e32 v6, 3, v2
	s_and_saveexec_b64 s[6:7], s[8:9]
	s_cbranch_execz .LBB48_6
; %bb.1:
	v_and_b32_e32 v7, 0x7f, v0
	v_mul_lo_u32 v8, s12, v4
	v_lshlrev_b32_e32 v7, 3, v7
	v_lshlrev_b32_e32 v8, 3, v8
	v_add3_u32 v16, v7, v8, 0
	v_mul_lo_u32 v9, s11, v4
	v_mul_lo_u32 v8, s10, v4
	s_lshl_b64 s[2:3], s[18:19], 3
	v_lshl_add_u64 v[8:9], v[8:9], 3, s[2:3]
	v_mov_b32_e32 v7, v1
	v_mov_b32_e32 v5, v1
	v_lshl_add_u64 v[8:9], v[8:9], 0, v[6:7]
	v_cmp_gt_i64_e32 vcc, s[14:15], v[4:5]
	s_lshl_b32 s5, s12, 4
	s_waitcnt lgkmcnt(0)
	v_lshl_add_u64 v[8:9], s[16:17], 0, v[8:9]
	s_lshl_b64 s[20:21], s[10:11], 4
	s_mov_b64 s[22:23], 0
	s_mov_b64 s[24:25], 0x80
	;; [unrolled: 1-line block ×3, first 2 shown]
	v_mov_b64_e32 v[10:11], v[2:3]
	s_branch .LBB48_3
.LBB48_2:                               ;   in Loop: Header=BB48_3 Depth=1
	s_or_b64 exec, exec, s[28:29]
	v_lshl_add_u64 v[10:11], v[10:11], 0, s[24:25]
	v_cmp_le_i64_e64 s[2:3], s[12:13], v[10:11]
	v_add_u32_e32 v16, 0x400, v16
	s_or_b64 s[22:23], s[2:3], s[22:23]
	v_lshl_add_u64 v[8:9], v[8:9], 0, s[26:27]
	s_andn2_b64 exec, exec, s[22:23]
	s_cbranch_execz .LBB48_6
.LBB48_3:                               ; =>This Loop Header: Depth=1
                                        ;     Child Loop BB48_5 Depth 2
	s_and_saveexec_b64 s[28:29], vcc
	s_cbranch_execz .LBB48_2
; %bb.4:                                ;   in Loop: Header=BB48_3 Depth=1
	s_mov_b64 s[30:31], 0
	v_mov_b64_e32 v[12:13], v[8:9]
	v_mov_b32_e32 v7, v16
	v_mov_b64_e32 v[14:15], v[4:5]
.LBB48_5:                               ;   Parent Loop BB48_3 Depth=1
                                        ; =>  This Inner Loop Header: Depth=2
	flat_load_dwordx2 v[18:19], v[12:13]
	v_lshl_add_u64 v[14:15], v[14:15], 0, 2
	v_cmp_le_i64_e64 s[2:3], s[14:15], v[14:15]
	v_lshl_add_u64 v[12:13], v[12:13], 0, s[20:21]
	s_or_b64 s[30:31], s[2:3], s[30:31]
	s_waitcnt vmcnt(0) lgkmcnt(0)
	ds_write_b64 v7, v[18:19]
	v_add_u32_e32 v7, s5, v7
	s_andn2_b64 exec, exec, s[30:31]
	s_cbranch_execnz .LBB48_5
	s_branch .LBB48_2
.LBB48_6:
	s_or_b64 exec, exec, s[6:7]
	v_mov_b64_e32 v[8:9], s[12:13]
	v_cmp_lt_i64_e32 vcc, s[14:15], v[8:9]
	s_and_b64 s[2:3], vcc, exec
	s_cselect_b32 s29, s15, s13
	s_cselect_b32 s28, s14, s12
	v_cmp_lt_i64_e64 s[2:3], s[28:29], 1
	s_and_b64 vcc, exec, s[2:3]
	s_waitcnt lgkmcnt(0)
	s_barrier
	s_cbranch_vccnz .LBB48_43
; %bb.7:
	s_load_dwordx8 s[20:27], s[0:1], 0x30
	v_mbcnt_lo_u32_b32 v5, -1, 0
	v_mbcnt_hi_u32_b32 v8, -1, v5
	v_and_b32_e32 v9, 63, v8
	v_cmp_ne_u32_e32 vcc, 63, v9
	s_waitcnt lgkmcnt(0)
	s_mul_i32 s1, s23, s4
	s_mul_hi_u32 s2, s22, s4
	s_mul_i32 s0, s22, s4
	s_add_i32 s1, s2, s1
	s_lshl_b64 s[0:1], s[0:1], 3
	s_mul_i32 s3, s27, s4
	s_mul_hi_u32 s5, s26, s4
	s_add_u32 s33, s20, s0
	s_addc_u32 s44, s21, s1
	s_add_i32 s1, s5, s3
	s_mul_i32 s0, s26, s4
	v_addc_co_u32_e32 v5, vcc, 0, v8, vcc
	s_lshl_b64 s[0:1], s[0:1], 3
	v_cmp_gt_u32_e32 vcc, 62, v9
	s_add_u32 s45, s24, s0
	s_mul_i32 s0, s14, s12
	v_cndmask_b32_e64 v7, 0, 2, vcc
	v_cmp_gt_u32_e32 vcc, 60, v9
	s_addc_u32 s46, s25, s1
	s_lshl_b32 s0, s0, 3
	v_cndmask_b32_e64 v10, 0, 4, vcc
	v_cmp_gt_u32_e32 vcc, 56, v9
	s_add_i32 s48, s0, 0
	s_lshl_b32 s0, s14, 3
	v_add_lshl_u32 v16, v10, v8, 2
	v_cndmask_b32_e64 v10, 0, 8, vcc
	v_cmp_gt_u32_e32 vcc, 48, v9
	s_add_i32 s49, s48, s0
	s_cmp_eq_u64 s[20:21], 0
	v_cndmask_b32_e64 v9, 0, 16, vcc
	v_add_lshl_u32 v18, v9, v8, 2
	v_mov_b32_e32 v9, 0x80
	v_add_lshl_u32 v7, v7, v8, 2
	v_add_lshl_u32 v17, v10, v8, 2
	v_lshl_or_b32 v19, v8, 2, v9
	v_and_b32_e32 v8, 63, v0
	s_cselect_b64 s[22:23], -1, 0
	s_cmp_lg_u64 s[20:21], 0
	v_cmp_eq_u32_e64 s[2:3], 0, v8
	s_cselect_b64 s[20:21], -1, 0
	s_lshl_b32 s50, s12, 3
	v_mul_lo_u32 v8, s12, v0
	v_lshrrev_b32_e32 v9, 3, v0
	v_lshlrev_b32_e32 v10, 3, v0
	v_add_u32_e32 v11, s12, v8
	v_mov_b32_e32 v8, 0
	s_add_i32 s6, s50, 0
	s_mov_b32 s26, 0
	s_mov_b32 s47, 0
	v_lshlrev_b32_e32 v5, 2, v5
	v_cmp_eq_u32_e64 s[4:5], 0, v0
	s_mov_b64 s[0:1], 0
	v_add3_u32 v20, v10, 0, 8
	s_add_i32 s51, s50, 8
	v_lshl_add_u32 v21, v11, 3, 0
	s_lshl_b32 s52, s12, 11
	v_add_u32_e32 v22, s6, v10
	s_mov_b64 s[24:25], 0x100
	v_add_u32_e32 v23, s49, v9
	v_mov_b32_e32 v9, v8
	s_brev_b32 s27, 8
	v_mov_b32_e32 v24, 0x260
	v_mov_b32_e32 v25, 0x100
	;; [unrolled: 1-line block ×3, first 2 shown]
	s_branch .LBB48_9
.LBB48_8:                               ;   in Loop: Header=BB48_9 Depth=1
	s_or_b64 exec, exec, s[34:35]
	s_add_u32 s0, s0, 1
	s_addc_u32 s1, s1, 0
	v_mov_b64_e32 v[10:11], s[0:1]
	v_cmp_le_i64_e32 vcc, s[28:29], v[10:11]
	v_add_u32_e32 v20, s51, v20
	s_add_i32 s47, s47, s51
	v_add_u32_e32 v21, s51, v21
	v_add_u32_e32 v22, s51, v22
	s_waitcnt lgkmcnt(0)
	s_barrier
	s_cbranch_vccnz .LBB48_43
.LBB48_9:                               ; =>This Loop Header: Depth=1
                                        ;     Child Loop BB48_11 Depth 2
                                        ;     Child Loop BB48_24 Depth 2
	;; [unrolled: 1-line block ×3, first 2 shown]
                                        ;       Child Loop BB48_30 Depth 3
                                        ;     Child Loop BB48_34 Depth 2
                                        ;       Child Loop BB48_36 Depth 3
	s_sub_u32 s30, s12, s0
	s_subb_u32 s31, s13, s1
	s_add_u32 s34, s30, -1
	s_addc_u32 s35, s31, -1
	v_cmp_gt_i64_e64 s[6:7], s[34:35], v[0:1]
	v_mov_b64_e32 v[10:11], 0
	s_and_saveexec_b64 s[36:37], s[6:7]
	s_cbranch_execz .LBB48_13
; %bb.10:                               ;   in Loop: Header=BB48_9 Depth=1
	v_mov_b64_e32 v[10:11], 0
	s_mov_b64 s[38:39], 0
	v_mov_b32_e32 v14, v20
	v_mov_b64_e32 v[12:13], v[0:1]
.LBB48_11:                              ;   Parent Loop BB48_9 Depth=1
                                        ; =>  This Inner Loop Header: Depth=2
	ds_read_b64 v[28:29], v14
	v_lshl_add_u64 v[12:13], v[12:13], 0, s[24:25]
	v_cmp_le_i64_e32 vcc, s[34:35], v[12:13]
	v_add_u32_e32 v14, 0x800, v14
	s_or_b64 s[38:39], vcc, s[38:39]
	s_waitcnt lgkmcnt(0)
	v_fmac_f64_e32 v[10:11], v[28:29], v[28:29]
	s_andn2_b64 exec, exec, s[38:39]
	s_cbranch_execnz .LBB48_11
; %bb.12:                               ;   in Loop: Header=BB48_9 Depth=1
	s_or_b64 exec, exec, s[38:39]
.LBB48_13:                              ;   in Loop: Header=BB48_9 Depth=1
	s_or_b64 exec, exec, s[36:37]
	ds_bpermute_b32 v12, v5, v10
	ds_bpermute_b32 v13, v5, v11
	s_waitcnt lgkmcnt(0)
	v_add_f64 v[10:11], v[10:11], v[12:13]
	ds_bpermute_b32 v12, v7, v10
	ds_bpermute_b32 v13, v7, v11
	s_waitcnt lgkmcnt(0)
	v_add_f64 v[10:11], v[10:11], v[12:13]
	;; [unrolled: 4-line block ×6, first 2 shown]
	s_and_saveexec_b64 s[36:37], s[2:3]
; %bb.14:                               ;   in Loop: Header=BB48_9 Depth=1
	ds_write_b64 v23, v[10:11] offset:8
; %bb.15:                               ;   in Loop: Header=BB48_9 Depth=1
	s_or_b64 exec, exec, s[36:37]
	s_lshl_b32 s36, s0, 3
	s_add_i32 s53, s36, 0
	s_mul_i32 s36, s0, s12
	s_lshl_b32 s36, s36, 3
	s_add_i32 s53, s53, s36
	s_waitcnt lgkmcnt(0)
	s_barrier
	s_and_saveexec_b64 s[36:37], s[4:5]
	s_cbranch_execz .LBB48_22
; %bb.16:                               ;   in Loop: Header=BB48_9 Depth=1
	v_mov_b32_e32 v27, s49
	ds_read2_b64 v[12:15], v27 offset0:2 offset1:3
	ds_read_b64 v[28:29], v27 offset:32
	s_mov_b64 s[42:43], 0
	s_mov_b64 s[38:39], 0
	s_waitcnt lgkmcnt(1)
	v_add_f64 v[10:11], v[10:11], v[12:13]
	v_add_f64 v[10:11], v[10:11], v[14:15]
	s_waitcnt lgkmcnt(0)
	v_add_f64 v[14:15], v[10:11], v[28:29]
	v_cmp_nlt_f64_e32 vcc, 0, v[14:15]
                                        ; implicit-def: $vgpr10_vgpr11
	s_and_saveexec_b64 s[40:41], vcc
	s_xor_b64 s[40:41], exec, s[40:41]
	s_cbranch_execnz .LBB48_37
; %bb.17:                               ;   in Loop: Header=BB48_9 Depth=1
	s_or_saveexec_b64 s[40:41], s[40:41]
	v_mov_b64_e32 v[12:13], 1.0
	s_xor_b64 exec, exec, s[40:41]
	s_cbranch_execnz .LBB48_41
.LBB48_18:                              ;   in Loop: Header=BB48_9 Depth=1
	s_or_b64 exec, exec, s[40:41]
	s_and_saveexec_b64 s[40:41], s[38:39]
	s_cbranch_execnz .LBB48_42
.LBB48_19:                              ;   in Loop: Header=BB48_9 Depth=1
	s_or_b64 exec, exec, s[40:41]
	v_mov_b64_e32 v[14:15], 0
	s_and_saveexec_b64 s[38:39], s[42:43]
	s_cbranch_execz .LBB48_21
.LBB48_20:                              ;   in Loop: Header=BB48_9 Depth=1
	v_mov_b32_e32 v14, s53
	s_waitcnt lgkmcnt(0)
	ds_write_b64 v14, v[10:11]
	v_mov_b32_e32 v10, s49
	ds_read_b64 v[14:15], v10
.LBB48_21:                              ;   in Loop: Header=BB48_9 Depth=1
	s_or_b64 exec, exec, s[38:39]
	s_lshl_b64 s[38:39], s[0:1], 3
	s_add_u32 s38, s45, s38
	s_addc_u32 s39, s46, s39
	s_waitcnt lgkmcnt(0)
	v_mov_b32_e32 v10, s49
	global_store_dwordx2 v8, v[14:15], s[38:39]
	ds_write_b64 v10, v[12:13] offset:8
.LBB48_22:                              ;   in Loop: Header=BB48_9 Depth=1
	s_or_b64 exec, exec, s[36:37]
	s_waitcnt lgkmcnt(0)
	s_barrier
	s_and_saveexec_b64 s[36:37], s[6:7]
	s_cbranch_execz .LBB48_25
; %bb.23:                               ;   in Loop: Header=BB48_9 Depth=1
	s_mov_b32 s38, 0
	s_mov_b64 s[6:7], 0
	v_mov_b64_e32 v[10:11], v[0:1]
.LBB48_24:                              ;   Parent Loop BB48_9 Depth=1
                                        ; =>  This Inner Loop Header: Depth=2
	v_mov_b32_e32 v12, s49
	v_add_u32_e32 v27, s38, v20
	ds_read_b64 v[12:13], v12 offset:8
	ds_read_b64 v[14:15], v27
	v_lshl_add_u64 v[10:11], v[10:11], 0, s[24:25]
	s_addk_i32 s38, 0x800
	v_cmp_le_i64_e32 vcc, s[34:35], v[10:11]
	s_or_b64 s[6:7], vcc, s[6:7]
	s_waitcnt lgkmcnt(0)
	v_mul_f64 v[12:13], v[12:13], v[14:15]
	ds_write_b64 v27, v[12:13]
	s_andn2_b64 exec, exec, s[6:7]
	s_cbranch_execnz .LBB48_24
.LBB48_25:                              ;   in Loop: Header=BB48_9 Depth=1
	s_or_b64 exec, exec, s[36:37]
	s_not_b64 s[6:7], s[0:1]
	s_add_u32 s6, s14, s6
	s_addc_u32 s7, s15, s7
	v_cmp_gt_i64_e32 vcc, s[6:7], v[0:1]
	s_waitcnt lgkmcnt(0)
	s_barrier
	s_and_saveexec_b64 s[34:35], vcc
	s_cbranch_execz .LBB48_31
; %bb.26:                               ;   in Loop: Header=BB48_9 Depth=1
	s_mov_b64 s[36:37], 0
	v_cmp_gt_i64_e64 s[38:39], s[30:31], 0
	v_mov_b32_e32 v14, v21
	v_mov_b64_e32 v[10:11], v[0:1]
	s_branch .LBB48_28
.LBB48_27:                              ;   in Loop: Header=BB48_28 Depth=2
	v_mov_b32_e32 v15, s49
	ds_read_b64 v[28:29], v15
	v_lshl_add_u32 v15, v10, 3, s48
	v_lshl_add_u64 v[10:11], v[10:11], 0, s[24:25]
	v_cmp_le_i64_e32 vcc, s[6:7], v[10:11]
	s_or_b64 s[36:37], vcc, s[36:37]
	s_waitcnt lgkmcnt(0)
	v_mul_f64 v[12:13], v[12:13], v[28:29]
	v_add_u32_e32 v14, s52, v14
	ds_write_b64 v15, v[12:13]
	s_andn2_b64 exec, exec, s[36:37]
	s_cbranch_execz .LBB48_31
.LBB48_28:                              ;   Parent Loop BB48_9 Depth=1
                                        ; =>  This Loop Header: Depth=2
                                        ;       Child Loop BB48_30 Depth 3
	v_mov_b64_e32 v[12:13], 0
	s_andn2_b64 vcc, exec, s[38:39]
	s_cbranch_vccnz .LBB48_27
; %bb.29:                               ;   in Loop: Header=BB48_28 Depth=2
	s_mov_b64 s[40:41], 0
	v_mov_b32_e32 v15, v14
	s_mov_b32 s42, s47
.LBB48_30:                              ;   Parent Loop BB48_9 Depth=1
                                        ;     Parent Loop BB48_28 Depth=2
                                        ; =>    This Inner Loop Header: Depth=3
	v_mov_b32_e32 v27, s42
	ds_read_b64 v[28:29], v15
	ds_read_b64 v[32:33], v27
	s_add_u32 s40, s40, 1
	v_mov_b64_e32 v[30:31], s[30:31]
	s_addc_u32 s41, s41, 0
	v_cmp_ge_i64_e32 vcc, s[40:41], v[30:31]
	v_add_u32_e32 v15, 8, v15
	s_add_i32 s42, s42, 8
	s_waitcnt lgkmcnt(0)
	v_fmac_f64_e32 v[12:13], v[28:29], v[32:33]
	s_cbranch_vccz .LBB48_30
	s_branch .LBB48_27
.LBB48_31:                              ;   in Loop: Header=BB48_9 Depth=1
	s_or_b64 exec, exec, s[34:35]
	v_cmp_gt_i64_e32 vcc, s[30:31], v[0:1]
	s_waitcnt lgkmcnt(0)
	s_barrier
	s_and_saveexec_b64 s[34:35], vcc
	s_cbranch_execz .LBB48_8
; %bb.32:                               ;   in Loop: Header=BB48_9 Depth=1
	s_mov_b64 s[36:37], 0
	v_cmp_gt_i64_e64 s[38:39], s[6:7], 0
	v_mov_b32_e32 v12, v22
	v_mov_b64_e32 v[10:11], v[0:1]
	s_branch .LBB48_34
.LBB48_33:                              ;   in Loop: Header=BB48_34 Depth=2
	v_lshl_add_u64 v[10:11], v[10:11], 0, s[24:25]
	v_cmp_le_i64_e32 vcc, s[30:31], v[10:11]
	s_or_b64 s[36:37], vcc, s[36:37]
	v_add_u32_e32 v12, 0x800, v12
	s_andn2_b64 exec, exec, s[36:37]
	s_cbranch_execz .LBB48_8
.LBB48_34:                              ;   Parent Loop BB48_9 Depth=1
                                        ; =>  This Loop Header: Depth=2
                                        ;       Child Loop BB48_36 Depth 3
	s_andn2_b64 vcc, exec, s[38:39]
	s_cbranch_vccnz .LBB48_33
; %bb.35:                               ;   in Loop: Header=BB48_34 Depth=2
	v_lshl_add_u32 v13, v10, 3, s53
	s_mov_b64 s[40:41], 0
	s_mov_b32 s42, s48
	v_mov_b32_e32 v14, v12
.LBB48_36:                              ;   Parent Loop BB48_9 Depth=1
                                        ;     Parent Loop BB48_34 Depth=2
                                        ; =>    This Inner Loop Header: Depth=3
	v_mov_b32_e32 v15, s42
	ds_read_b64 v[28:29], v14
	ds_read_b64 v[30:31], v13
	;; [unrolled: 1-line block ×3, first 2 shown]
	s_add_u32 s40, s40, 1
	s_addc_u32 s41, s41, 0
	s_add_i32 s42, s42, 8
	s_waitcnt lgkmcnt(0)
	v_fma_f64 v[28:29], -v[30:31], v[32:33], v[28:29]
	ds_write_b64 v14, v[28:29]
	v_mov_b64_e32 v[28:29], s[6:7]
	v_cmp_ge_i64_e32 vcc, s[40:41], v[28:29]
	v_add_u32_e32 v14, s50, v14
	s_cbranch_vccz .LBB48_36
	s_branch .LBB48_33
.LBB48_37:                              ;   in Loop: Header=BB48_9 Depth=1
	v_mov_b32_e32 v10, s49
	s_and_b64 vcc, exec, s[20:21]
	ds_write_b64 v10, v[8:9]
	s_cbranch_vccz .LBB48_39
; %bb.38:                               ;   in Loop: Header=BB48_9 Depth=1
	v_mov_b32_e32 v10, s53
	ds_read_b64 v[10:11], v10
	s_mov_b64 s[38:39], -1
	s_branch .LBB48_40
.LBB48_39:                              ;   in Loop: Header=BB48_9 Depth=1
                                        ; implicit-def: $vgpr10_vgpr11
.LBB48_40:                              ;   in Loop: Header=BB48_9 Depth=1
	s_and_b64 s[38:39], s[38:39], exec
                                        ; implicit-def: $vgpr14_vgpr15
	s_or_saveexec_b64 s[40:41], s[40:41]
	v_mov_b64_e32 v[12:13], 1.0
	s_xor_b64 exec, exec, s[40:41]
	s_cbranch_execz .LBB48_18
.LBB48_41:                              ;   in Loop: Header=BB48_9 Depth=1
	s_waitcnt lgkmcnt(0)
	v_mov_b32_e32 v10, s53
	ds_read_b64 v[12:13], v10
	s_andn2_b64 s[38:39], s[38:39], exec
	s_and_b64 s[54:55], s[20:21], exec
	s_or_b64 s[38:39], s[38:39], s[54:55]
	s_waitcnt lgkmcnt(0)
	v_fmac_f64_e32 v[14:15], v[12:13], v[12:13]
	v_cmp_gt_f64_e32 vcc, s[26:27], v[14:15]
	s_nop 1
	v_cndmask_b32_e32 v10, 0, v25, vcc
	v_ldexp_f64 v[10:11], v[14:15], v10
	v_rsq_f64_e32 v[14:15], v[10:11]
	v_cndmask_b32_e32 v27, 0, v26, vcc
	v_cmp_class_f64_e32 vcc, v[10:11], v24
	v_mul_f64 v[28:29], v[10:11], v[14:15]
	v_mul_f64 v[14:15], v[14:15], 0.5
	v_fma_f64 v[30:31], -v[14:15], v[28:29], 0.5
	v_fmac_f64_e32 v[28:29], v[28:29], v[30:31]
	v_fmac_f64_e32 v[14:15], v[14:15], v[30:31]
	v_fma_f64 v[30:31], -v[28:29], v[28:29], v[10:11]
	v_fmac_f64_e32 v[28:29], v[30:31], v[14:15]
	v_fma_f64 v[30:31], -v[28:29], v[28:29], v[10:11]
	v_fmac_f64_e32 v[28:29], v[30:31], v[14:15]
	v_ldexp_f64 v[14:15], v[28:29], v27
	v_cndmask_b32_e32 v11, v15, v11, vcc
	v_cndmask_b32_e32 v10, v14, v10, vcc
	v_xor_b32_e32 v14, 0x80000000, v11
	v_cmp_le_f64_e32 vcc, 0, v[12:13]
	v_mov_b32_e32 v27, s49
	s_nop 0
	v_cndmask_b32_e32 v11, v11, v14, vcc
	v_add_f64 v[14:15], v[12:13], -v[10:11]
	v_div_scale_f64 v[28:29], s[42:43], v[14:15], v[14:15], 1.0
	v_rcp_f64_e32 v[30:31], v[28:29]
	v_div_scale_f64 v[32:33], vcc, 1.0, v[14:15], 1.0
	v_fma_f64 v[34:35], -v[28:29], v[30:31], 1.0
	v_fmac_f64_e32 v[30:31], v[30:31], v[34:35]
	v_fma_f64 v[34:35], -v[28:29], v[30:31], 1.0
	v_fmac_f64_e32 v[30:31], v[30:31], v[34:35]
	v_mul_f64 v[34:35], v[32:33], v[30:31]
	v_fma_f64 v[28:29], -v[28:29], v[34:35], v[32:33]
	v_add_f64 v[32:33], v[10:11], -v[12:13]
	v_div_scale_f64 v[36:37], s[42:43], v[10:11], v[10:11], v[32:33]
	v_rcp_f64_e32 v[38:39], v[36:37]
	v_div_fmas_f64 v[12:13], v[28:29], v[30:31], v[34:35]
	v_div_fixup_f64 v[12:13], v[12:13], v[14:15], 1.0
	s_and_b64 s[42:43], s[22:23], exec
	v_fma_f64 v[14:15], -v[36:37], v[38:39], 1.0
	v_fmac_f64_e32 v[38:39], v[38:39], v[14:15]
	v_fma_f64 v[14:15], -v[36:37], v[38:39], 1.0
	v_fmac_f64_e32 v[38:39], v[38:39], v[14:15]
	v_div_scale_f64 v[14:15], vcc, v[32:33], v[10:11], v[32:33]
	v_mul_f64 v[28:29], v[14:15], v[38:39]
	v_fma_f64 v[14:15], -v[36:37], v[28:29], v[14:15]
	s_nop 1
	v_div_fmas_f64 v[14:15], v[14:15], v[38:39], v[28:29]
	v_div_fixup_f64 v[14:15], v[14:15], v[10:11], v[32:33]
	ds_write_b64 v27, v[14:15]
	s_or_b64 exec, exec, s[40:41]
	s_and_saveexec_b64 s[40:41], s[38:39]
	s_cbranch_execz .LBB48_19
.LBB48_42:                              ;   in Loop: Header=BB48_9 Depth=1
	s_lshl_b64 s[38:39], s[0:1], 3
	s_add_u32 s38, s33, s38
	s_addc_u32 s39, s44, s39
	s_waitcnt lgkmcnt(0)
	global_store_dwordx2 v8, v[10:11], s[38:39]
	v_mov_b64_e32 v[10:11], 1.0
	s_or_b64 s[42:43], s[42:43], exec
	s_or_b64 exec, exec, s[40:41]
	v_mov_b64_e32 v[14:15], 0
	s_and_saveexec_b64 s[38:39], s[42:43]
	s_cbranch_execnz .LBB48_20
	s_branch .LBB48_21
.LBB48_43:
	s_and_saveexec_b64 s[0:1], s[8:9]
	s_cbranch_execz .LBB48_49
; %bb.44:
	v_mov_b32_e32 v5, 0
	v_mul_lo_u32 v9, s11, v4
	v_mul_lo_u32 v8, s10, v4
	s_lshl_b64 s[0:1], s[18:19], 3
	v_lshl_add_u64 v[8:9], v[8:9], 3, s[0:1]
	v_mov_b32_e32 v7, v5
	v_and_b32_e32 v0, 0x7f, v0
	v_mul_lo_u32 v1, s12, v4
	v_lshl_add_u64 v[6:7], v[8:9], 0, v[6:7]
	v_lshlrev_b32_e32 v0, 3, v0
	v_lshlrev_b32_e32 v1, 3, v1
	v_cmp_gt_i64_e32 vcc, s[14:15], v[4:5]
	v_lshl_add_u64 v[6:7], s[16:17], 0, v[6:7]
	s_lshl_b64 s[2:3], s[10:11], 4
	v_add3_u32 v10, v0, v1, 0
	s_lshl_b32 s18, s12, 4
	s_mov_b64 s[4:5], 0
	s_mov_b64 s[6:7], 0x80
	;; [unrolled: 1-line block ×3, first 2 shown]
	s_branch .LBB48_46
.LBB48_45:                              ;   in Loop: Header=BB48_46 Depth=1
	s_or_b64 exec, exec, s[10:11]
	v_lshl_add_u64 v[2:3], v[2:3], 0, s[6:7]
	v_cmp_le_i64_e64 s[0:1], s[12:13], v[2:3]
	v_lshl_add_u64 v[6:7], v[6:7], 0, s[8:9]
	s_or_b64 s[4:5], s[0:1], s[4:5]
	v_add_u32_e32 v10, 0x400, v10
	s_andn2_b64 exec, exec, s[4:5]
	s_cbranch_execz .LBB48_49
.LBB48_46:                              ; =>This Loop Header: Depth=1
                                        ;     Child Loop BB48_48 Depth 2
	s_and_saveexec_b64 s[10:11], vcc
	s_cbranch_execz .LBB48_45
; %bb.47:                               ;   in Loop: Header=BB48_46 Depth=1
	s_mov_b64 s[16:17], 0
	v_mov_b32_e32 v11, v10
	v_mov_b64_e32 v[0:1], v[6:7]
	v_mov_b64_e32 v[8:9], v[4:5]
.LBB48_48:                              ;   Parent Loop BB48_46 Depth=1
                                        ; =>  This Inner Loop Header: Depth=2
	ds_read_b64 v[12:13], v11
	v_lshl_add_u64 v[8:9], v[8:9], 0, 2
	v_cmp_le_i64_e64 s[0:1], s[14:15], v[8:9]
	v_add_u32_e32 v11, s18, v11
	s_or_b64 s[16:17], s[0:1], s[16:17]
	s_waitcnt lgkmcnt(0)
	flat_store_dwordx2 v[0:1], v[12:13]
	v_lshl_add_u64 v[0:1], v[0:1], 0, s[2:3]
	s_andn2_b64 exec, exec, s[16:17]
	s_cbranch_execnz .LBB48_48
	s_branch .LBB48_45
.LBB48_49:
	s_endpgm
	.section	.rodata,"a",@progbits
	.p2align	6, 0x0
	.amdhsa_kernel _ZN9rocsolver6v33100L18geqr2_kernel_smallILi256EdldPKPdEEvT1_S5_T3_lS5_lPT2_lPT0_l
		.amdhsa_group_segment_fixed_size 0
		.amdhsa_private_segment_fixed_size 0
		.amdhsa_kernarg_size 80
		.amdhsa_user_sgpr_count 2
		.amdhsa_user_sgpr_dispatch_ptr 0
		.amdhsa_user_sgpr_queue_ptr 0
		.amdhsa_user_sgpr_kernarg_segment_ptr 1
		.amdhsa_user_sgpr_dispatch_id 0
		.amdhsa_user_sgpr_kernarg_preload_length 0
		.amdhsa_user_sgpr_kernarg_preload_offset 0
		.amdhsa_user_sgpr_private_segment_size 0
		.amdhsa_uses_dynamic_stack 0
		.amdhsa_enable_private_segment 0
		.amdhsa_system_sgpr_workgroup_id_x 1
		.amdhsa_system_sgpr_workgroup_id_y 0
		.amdhsa_system_sgpr_workgroup_id_z 1
		.amdhsa_system_sgpr_workgroup_info 0
		.amdhsa_system_vgpr_workitem_id 0
		.amdhsa_next_free_vgpr 40
		.amdhsa_next_free_sgpr 56
		.amdhsa_accum_offset 40
		.amdhsa_reserve_vcc 1
		.amdhsa_float_round_mode_32 0
		.amdhsa_float_round_mode_16_64 0
		.amdhsa_float_denorm_mode_32 3
		.amdhsa_float_denorm_mode_16_64 3
		.amdhsa_dx10_clamp 1
		.amdhsa_ieee_mode 1
		.amdhsa_fp16_overflow 0
		.amdhsa_tg_split 0
		.amdhsa_exception_fp_ieee_invalid_op 0
		.amdhsa_exception_fp_denorm_src 0
		.amdhsa_exception_fp_ieee_div_zero 0
		.amdhsa_exception_fp_ieee_overflow 0
		.amdhsa_exception_fp_ieee_underflow 0
		.amdhsa_exception_fp_ieee_inexact 0
		.amdhsa_exception_int_div_zero 0
	.end_amdhsa_kernel
	.section	.text._ZN9rocsolver6v33100L18geqr2_kernel_smallILi256EdldPKPdEEvT1_S5_T3_lS5_lPT2_lPT0_l,"axG",@progbits,_ZN9rocsolver6v33100L18geqr2_kernel_smallILi256EdldPKPdEEvT1_S5_T3_lS5_lPT2_lPT0_l,comdat
.Lfunc_end48:
	.size	_ZN9rocsolver6v33100L18geqr2_kernel_smallILi256EdldPKPdEEvT1_S5_T3_lS5_lPT2_lPT0_l, .Lfunc_end48-_ZN9rocsolver6v33100L18geqr2_kernel_smallILi256EdldPKPdEEvT1_S5_T3_lS5_lPT2_lPT0_l
                                        ; -- End function
	.set _ZN9rocsolver6v33100L18geqr2_kernel_smallILi256EdldPKPdEEvT1_S5_T3_lS5_lPT2_lPT0_l.num_vgpr, 40
	.set _ZN9rocsolver6v33100L18geqr2_kernel_smallILi256EdldPKPdEEvT1_S5_T3_lS5_lPT2_lPT0_l.num_agpr, 0
	.set _ZN9rocsolver6v33100L18geqr2_kernel_smallILi256EdldPKPdEEvT1_S5_T3_lS5_lPT2_lPT0_l.numbered_sgpr, 56
	.set _ZN9rocsolver6v33100L18geqr2_kernel_smallILi256EdldPKPdEEvT1_S5_T3_lS5_lPT2_lPT0_l.num_named_barrier, 0
	.set _ZN9rocsolver6v33100L18geqr2_kernel_smallILi256EdldPKPdEEvT1_S5_T3_lS5_lPT2_lPT0_l.private_seg_size, 0
	.set _ZN9rocsolver6v33100L18geqr2_kernel_smallILi256EdldPKPdEEvT1_S5_T3_lS5_lPT2_lPT0_l.uses_vcc, 1
	.set _ZN9rocsolver6v33100L18geqr2_kernel_smallILi256EdldPKPdEEvT1_S5_T3_lS5_lPT2_lPT0_l.uses_flat_scratch, 0
	.set _ZN9rocsolver6v33100L18geqr2_kernel_smallILi256EdldPKPdEEvT1_S5_T3_lS5_lPT2_lPT0_l.has_dyn_sized_stack, 0
	.set _ZN9rocsolver6v33100L18geqr2_kernel_smallILi256EdldPKPdEEvT1_S5_T3_lS5_lPT2_lPT0_l.has_recursion, 0
	.set _ZN9rocsolver6v33100L18geqr2_kernel_smallILi256EdldPKPdEEvT1_S5_T3_lS5_lPT2_lPT0_l.has_indirect_call, 0
	.section	.AMDGPU.csdata,"",@progbits
; Kernel info:
; codeLenInByte = 2580
; TotalNumSgprs: 62
; NumVgprs: 40
; NumAgprs: 0
; TotalNumVgprs: 40
; ScratchSize: 0
; MemoryBound: 0
; FloatMode: 240
; IeeeMode: 1
; LDSByteSize: 0 bytes/workgroup (compile time only)
; SGPRBlocks: 7
; VGPRBlocks: 4
; NumSGPRsForWavesPerEU: 62
; NumVGPRsForWavesPerEU: 40
; AccumOffset: 40
; Occupancy: 8
; WaveLimiterHint : 0
; COMPUTE_PGM_RSRC2:SCRATCH_EN: 0
; COMPUTE_PGM_RSRC2:USER_SGPR: 2
; COMPUTE_PGM_RSRC2:TRAP_HANDLER: 0
; COMPUTE_PGM_RSRC2:TGID_X_EN: 1
; COMPUTE_PGM_RSRC2:TGID_Y_EN: 0
; COMPUTE_PGM_RSRC2:TGID_Z_EN: 1
; COMPUTE_PGM_RSRC2:TIDIG_COMP_CNT: 0
; COMPUTE_PGM_RSRC3_GFX90A:ACCUM_OFFSET: 9
; COMPUTE_PGM_RSRC3_GFX90A:TG_SPLIT: 0
	.section	.text._ZN9rocsolver6v33100L8set_diagIdldPKPdTnNSt9enable_ifIXoont18rocblas_is_complexIT_E18rocblas_is_complexIT1_EEiE4typeELi0EEEvPS7_llT2_lT0_lSC_b,"axG",@progbits,_ZN9rocsolver6v33100L8set_diagIdldPKPdTnNSt9enable_ifIXoont18rocblas_is_complexIT_E18rocblas_is_complexIT1_EEiE4typeELi0EEEvPS7_llT2_lT0_lSC_b,comdat
	.globl	_ZN9rocsolver6v33100L8set_diagIdldPKPdTnNSt9enable_ifIXoont18rocblas_is_complexIT_E18rocblas_is_complexIT1_EEiE4typeELi0EEEvPS7_llT2_lT0_lSC_b ; -- Begin function _ZN9rocsolver6v33100L8set_diagIdldPKPdTnNSt9enable_ifIXoont18rocblas_is_complexIT_E18rocblas_is_complexIT1_EEiE4typeELi0EEEvPS7_llT2_lT0_lSC_b
	.p2align	8
	.type	_ZN9rocsolver6v33100L8set_diagIdldPKPdTnNSt9enable_ifIXoont18rocblas_is_complexIT_E18rocblas_is_complexIT1_EEiE4typeELi0EEEvPS7_llT2_lT0_lSC_b,@function
_ZN9rocsolver6v33100L8set_diagIdldPKPdTnNSt9enable_ifIXoont18rocblas_is_complexIT_E18rocblas_is_complexIT1_EEiE4typeELi0EEEvPS7_llT2_lT0_lSC_b: ; @_ZN9rocsolver6v33100L8set_diagIdldPKPdTnNSt9enable_ifIXoont18rocblas_is_complexIT_E18rocblas_is_complexIT1_EEiE4typeELi0EEEvPS7_llT2_lT0_lSC_b
; %bb.0:
	s_load_dword s6, s[0:1], 0x54
	s_load_dwordx2 s[4:5], s[0:1], 0x38
	v_bfe_u32 v0, v0, 10, 10
	v_mov_b32_e32 v1, 0
	s_waitcnt lgkmcnt(0)
	s_lshr_b32 s6, s6, 16
	s_mul_i32 s3, s3, s6
	v_add_u32_e32 v0, s3, v0
	v_cmp_gt_i64_e32 vcc, s[4:5], v[0:1]
	s_and_saveexec_b64 s[4:5], vcc
	s_cbranch_execz .LBB49_2
; %bb.1:
	s_load_dword s16, s[0:1], 0x40
	s_load_dwordx4 s[12:15], s[0:1], 0x20
	s_load_dwordx8 s[4:11], s[0:1], 0x0
	s_mov_b32 s3, 0
	v_mov_b32_e32 v6, 0x3ff00000
	s_waitcnt lgkmcnt(0)
	s_bitcmp1_b32 s16, 0
	s_cselect_b64 vcc, -1, 0
	s_lshl_b64 s[0:1], s[2:3], 3
	s_add_u32 s0, s10, s0
	s_addc_u32 s1, s11, s1
	s_load_dwordx2 s[0:1], s[0:1], 0x0
	v_mad_u64_u32 v[2:3], s[10:11], v0, s14, v[0:1]
	s_lshl_b64 s[10:11], s[12:13], 3
	v_mov_b32_e32 v4, v3
	s_waitcnt lgkmcnt(0)
	s_add_u32 s0, s0, s10
	s_addc_u32 s1, s1, s11
	v_mad_u64_u32 v[4:5], s[10:11], v0, s15, v[4:5]
	v_mov_b32_e32 v3, v4
	v_lshl_add_u64 v[2:3], v[2:3], 3, s[0:1]
	flat_load_dwordx2 v[4:5], v[2:3]
	s_mul_i32 s1, s9, s2
	s_mul_hi_u32 s3, s8, s2
	s_mul_i32 s0, s8, s2
	s_add_i32 s1, s3, s1
	s_lshl_b64 s[0:1], s[0:1], 3
	s_add_u32 s2, s4, s0
	s_addc_u32 s3, s5, s1
	s_lshl_b64 s[0:1], s[6:7], 3
	s_add_u32 s0, s2, s0
	s_addc_u32 s1, s3, s1
	v_lshl_add_u64 v[0:1], v[0:1], 3, s[0:1]
	s_waitcnt vmcnt(0) lgkmcnt(0)
	global_store_dwordx2 v[0:1], v[4:5], off
	v_cndmask_b32_e32 v1, v5, v6, vcc
	v_cndmask_b32_e64 v0, v4, 0, vcc
	flat_store_dwordx2 v[2:3], v[0:1]
.LBB49_2:
	s_endpgm
	.section	.rodata,"a",@progbits
	.p2align	6, 0x0
	.amdhsa_kernel _ZN9rocsolver6v33100L8set_diagIdldPKPdTnNSt9enable_ifIXoont18rocblas_is_complexIT_E18rocblas_is_complexIT1_EEiE4typeELi0EEEvPS7_llT2_lT0_lSC_b
		.amdhsa_group_segment_fixed_size 0
		.amdhsa_private_segment_fixed_size 0
		.amdhsa_kernarg_size 328
		.amdhsa_user_sgpr_count 2
		.amdhsa_user_sgpr_dispatch_ptr 0
		.amdhsa_user_sgpr_queue_ptr 0
		.amdhsa_user_sgpr_kernarg_segment_ptr 1
		.amdhsa_user_sgpr_dispatch_id 0
		.amdhsa_user_sgpr_kernarg_preload_length 0
		.amdhsa_user_sgpr_kernarg_preload_offset 0
		.amdhsa_user_sgpr_private_segment_size 0
		.amdhsa_uses_dynamic_stack 0
		.amdhsa_enable_private_segment 0
		.amdhsa_system_sgpr_workgroup_id_x 1
		.amdhsa_system_sgpr_workgroup_id_y 1
		.amdhsa_system_sgpr_workgroup_id_z 0
		.amdhsa_system_sgpr_workgroup_info 0
		.amdhsa_system_vgpr_workitem_id 1
		.amdhsa_next_free_vgpr 7
		.amdhsa_next_free_sgpr 17
		.amdhsa_accum_offset 8
		.amdhsa_reserve_vcc 1
		.amdhsa_float_round_mode_32 0
		.amdhsa_float_round_mode_16_64 0
		.amdhsa_float_denorm_mode_32 3
		.amdhsa_float_denorm_mode_16_64 3
		.amdhsa_dx10_clamp 1
		.amdhsa_ieee_mode 1
		.amdhsa_fp16_overflow 0
		.amdhsa_tg_split 0
		.amdhsa_exception_fp_ieee_invalid_op 0
		.amdhsa_exception_fp_denorm_src 0
		.amdhsa_exception_fp_ieee_div_zero 0
		.amdhsa_exception_fp_ieee_overflow 0
		.amdhsa_exception_fp_ieee_underflow 0
		.amdhsa_exception_fp_ieee_inexact 0
		.amdhsa_exception_int_div_zero 0
	.end_amdhsa_kernel
	.section	.text._ZN9rocsolver6v33100L8set_diagIdldPKPdTnNSt9enable_ifIXoont18rocblas_is_complexIT_E18rocblas_is_complexIT1_EEiE4typeELi0EEEvPS7_llT2_lT0_lSC_b,"axG",@progbits,_ZN9rocsolver6v33100L8set_diagIdldPKPdTnNSt9enable_ifIXoont18rocblas_is_complexIT_E18rocblas_is_complexIT1_EEiE4typeELi0EEEvPS7_llT2_lT0_lSC_b,comdat
.Lfunc_end49:
	.size	_ZN9rocsolver6v33100L8set_diagIdldPKPdTnNSt9enable_ifIXoont18rocblas_is_complexIT_E18rocblas_is_complexIT1_EEiE4typeELi0EEEvPS7_llT2_lT0_lSC_b, .Lfunc_end49-_ZN9rocsolver6v33100L8set_diagIdldPKPdTnNSt9enable_ifIXoont18rocblas_is_complexIT_E18rocblas_is_complexIT1_EEiE4typeELi0EEEvPS7_llT2_lT0_lSC_b
                                        ; -- End function
	.set _ZN9rocsolver6v33100L8set_diagIdldPKPdTnNSt9enable_ifIXoont18rocblas_is_complexIT_E18rocblas_is_complexIT1_EEiE4typeELi0EEEvPS7_llT2_lT0_lSC_b.num_vgpr, 7
	.set _ZN9rocsolver6v33100L8set_diagIdldPKPdTnNSt9enable_ifIXoont18rocblas_is_complexIT_E18rocblas_is_complexIT1_EEiE4typeELi0EEEvPS7_llT2_lT0_lSC_b.num_agpr, 0
	.set _ZN9rocsolver6v33100L8set_diagIdldPKPdTnNSt9enable_ifIXoont18rocblas_is_complexIT_E18rocblas_is_complexIT1_EEiE4typeELi0EEEvPS7_llT2_lT0_lSC_b.numbered_sgpr, 17
	.set _ZN9rocsolver6v33100L8set_diagIdldPKPdTnNSt9enable_ifIXoont18rocblas_is_complexIT_E18rocblas_is_complexIT1_EEiE4typeELi0EEEvPS7_llT2_lT0_lSC_b.num_named_barrier, 0
	.set _ZN9rocsolver6v33100L8set_diagIdldPKPdTnNSt9enable_ifIXoont18rocblas_is_complexIT_E18rocblas_is_complexIT1_EEiE4typeELi0EEEvPS7_llT2_lT0_lSC_b.private_seg_size, 0
	.set _ZN9rocsolver6v33100L8set_diagIdldPKPdTnNSt9enable_ifIXoont18rocblas_is_complexIT_E18rocblas_is_complexIT1_EEiE4typeELi0EEEvPS7_llT2_lT0_lSC_b.uses_vcc, 1
	.set _ZN9rocsolver6v33100L8set_diagIdldPKPdTnNSt9enable_ifIXoont18rocblas_is_complexIT_E18rocblas_is_complexIT1_EEiE4typeELi0EEEvPS7_llT2_lT0_lSC_b.uses_flat_scratch, 0
	.set _ZN9rocsolver6v33100L8set_diagIdldPKPdTnNSt9enable_ifIXoont18rocblas_is_complexIT_E18rocblas_is_complexIT1_EEiE4typeELi0EEEvPS7_llT2_lT0_lSC_b.has_dyn_sized_stack, 0
	.set _ZN9rocsolver6v33100L8set_diagIdldPKPdTnNSt9enable_ifIXoont18rocblas_is_complexIT_E18rocblas_is_complexIT1_EEiE4typeELi0EEEvPS7_llT2_lT0_lSC_b.has_recursion, 0
	.set _ZN9rocsolver6v33100L8set_diagIdldPKPdTnNSt9enable_ifIXoont18rocblas_is_complexIT_E18rocblas_is_complexIT1_EEiE4typeELi0EEEvPS7_llT2_lT0_lSC_b.has_indirect_call, 0
	.section	.AMDGPU.csdata,"",@progbits
; Kernel info:
; codeLenInByte = 264
; TotalNumSgprs: 23
; NumVgprs: 7
; NumAgprs: 0
; TotalNumVgprs: 7
; ScratchSize: 0
; MemoryBound: 0
; FloatMode: 240
; IeeeMode: 1
; LDSByteSize: 0 bytes/workgroup (compile time only)
; SGPRBlocks: 2
; VGPRBlocks: 0
; NumSGPRsForWavesPerEU: 23
; NumVGPRsForWavesPerEU: 7
; AccumOffset: 8
; Occupancy: 8
; WaveLimiterHint : 1
; COMPUTE_PGM_RSRC2:SCRATCH_EN: 0
; COMPUTE_PGM_RSRC2:USER_SGPR: 2
; COMPUTE_PGM_RSRC2:TRAP_HANDLER: 0
; COMPUTE_PGM_RSRC2:TGID_X_EN: 1
; COMPUTE_PGM_RSRC2:TGID_Y_EN: 1
; COMPUTE_PGM_RSRC2:TGID_Z_EN: 0
; COMPUTE_PGM_RSRC2:TIDIG_COMP_CNT: 1
; COMPUTE_PGM_RSRC3_GFX90A:ACCUM_OFFSET: 1
; COMPUTE_PGM_RSRC3_GFX90A:TG_SPLIT: 0
	.section	.text._ZN9rocsolver6v33100L11set_taubetaIdldPKPdEEvPT_lS6_T2_llPT1_ll,"axG",@progbits,_ZN9rocsolver6v33100L11set_taubetaIdldPKPdEEvPT_lS6_T2_llPT1_ll,comdat
	.globl	_ZN9rocsolver6v33100L11set_taubetaIdldPKPdEEvPT_lS6_T2_llPT1_ll ; -- Begin function _ZN9rocsolver6v33100L11set_taubetaIdldPKPdEEvPT_lS6_T2_llPT1_ll
	.p2align	8
	.type	_ZN9rocsolver6v33100L11set_taubetaIdldPKPdEEvPT_lS6_T2_llPT1_ll,@function
_ZN9rocsolver6v33100L11set_taubetaIdldPKPdEEvPT_lS6_T2_llPT1_ll: ; @_ZN9rocsolver6v33100L11set_taubetaIdldPKPdEEvPT_lS6_T2_llPT1_ll
; %bb.0:
	s_load_dwordx8 s[4:11], s[0:1], 0x0
	s_load_dwordx2 s[20:21], s[0:1], 0x20
	s_load_dwordx4 s[12:15], s[0:1], 0x30
	s_mov_b32 s3, 0
	s_lshl_b64 s[18:19], s[2:3], 3
	s_waitcnt lgkmcnt(0)
	s_add_u32 s10, s10, s18
	s_addc_u32 s11, s11, s19
	s_load_dwordx2 s[22:23], s[10:11], 0x0
	s_mov_b64 s[16:17], 0
	s_cmp_eq_u64 s[12:13], 0
	s_mov_b64 s[10:11], 0
	s_cbranch_scc1 .LBB50_2
; %bb.1:
	s_load_dwordx2 s[0:1], s[0:1], 0x40
	s_waitcnt lgkmcnt(0)
	s_mul_i32 s1, s1, s2
	s_mul_hi_u32 s3, s0, s2
	s_mul_i32 s0, s0, s2
	s_add_i32 s1, s3, s1
	s_lshl_b64 s[0:1], s[0:1], 3
	s_add_u32 s3, s12, s0
	s_addc_u32 s11, s13, s1
	s_lshl_b64 s[0:1], s[14:15], 3
	s_add_u32 s10, s3, s0
	s_addc_u32 s11, s11, s1
.LBB50_2:
	s_lshl_b64 s[0:1], s[20:21], 3
	s_waitcnt lgkmcnt(0)
	s_add_u32 s0, s22, s0
	s_mul_i32 s3, s7, s2
	s_mul_hi_u32 s7, s6, s2
	s_addc_u32 s1, s23, s1
	s_add_i32 s3, s7, s3
	s_mul_i32 s2, s6, s2
	s_lshl_b64 s[2:3], s[2:3], 3
	s_add_u32 s2, s4, s2
	s_addc_u32 s3, s5, s3
	s_add_u32 s8, s8, s18
	s_addc_u32 s9, s9, s19
	s_load_dwordx2 s[12:13], s[8:9], 0x0
	s_cmp_eq_u64 s[10:11], 0
	s_cselect_b64 s[6:7], -1, 0
	s_cmp_lg_u64 s[10:11], 0
	s_cselect_b64 s[4:5], -1, 0
	s_waitcnt lgkmcnt(0)
	v_cmp_ngt_f64_e64 s[14:15], s[12:13], 0
	s_and_b64 vcc, exec, s[14:15]
	s_cbranch_vccz .LBB50_8
; %bb.3:
	v_mov_b32_e32 v0, 0
	v_mov_b32_e32 v1, 0x3ff00000
	global_store_dwordx2 v0, v[0:1], s[8:9]
	v_mov_b32_e32 v1, v0
	s_mov_b64 s[18:19], 0
	s_and_b64 vcc, exec, s[4:5]
	s_mov_b64 s[14:15], 0
	global_store_dwordx2 v0, v[0:1], s[2:3]
                                        ; implicit-def: $vgpr0_vgpr1
	s_cbranch_vccnz .LBB50_9
; %bb.4:
	s_and_b64 vcc, exec, s[18:19]
	s_cbranch_vccnz .LBB50_10
.LBB50_5:
	s_andn2_b64 vcc, exec, s[14:15]
	s_cbranch_vccz .LBB50_11
.LBB50_6:
	s_andn2_b64 vcc, exec, s[16:17]
	s_cbranch_vccz .LBB50_12
; %bb.7:
	s_endpgm
.LBB50_8:
                                        ; implicit-def: $vgpr0_vgpr1
	s_mov_b64 s[14:15], 0
	s_cbranch_execz .LBB50_5
	s_branch .LBB50_10
.LBB50_9:
	v_mov_b64_e32 v[0:1], s[0:1]
	flat_load_dwordx2 v[0:1], v[0:1]
	s_mov_b64 s[14:15], -1
	s_and_b64 vcc, exec, s[18:19]
	s_cbranch_vccz .LBB50_5
.LBB50_10:
	v_mov_b64_e32 v[2:3], s[0:1]
	flat_load_dwordx2 v[4:5], v[2:3]
	s_mov_b32 s14, 0
	s_brev_b32 s15, 8
	v_mov_b32_e32 v6, 0x100
	v_mov_b32_e32 v8, 0xffffff80
	v_mov_b32_e32 v12, 0x260
	v_mov_b32_e32 v14, 0
	s_mov_b64 s[16:17], s[6:7]
	s_waitcnt vmcnt(0) lgkmcnt(0)
	v_fma_f64 v[0:1], v[4:5], v[4:5], s[12:13]
	v_cmp_gt_f64_e32 vcc, s[14:15], v[0:1]
	s_mov_b64 s[14:15], s[4:5]
	s_nop 0
	v_cndmask_b32_e32 v6, 0, v6, vcc
	v_ldexp_f64 v[0:1], v[0:1], v6
	v_rsq_f64_e32 v[6:7], v[0:1]
	v_cndmask_b32_e32 v13, 0, v8, vcc
	v_cmp_class_f64_e32 vcc, v[0:1], v12
	v_mul_f64 v[8:9], v[0:1], v[6:7]
	v_mul_f64 v[6:7], v[6:7], 0.5
	v_fma_f64 v[10:11], -v[6:7], v[8:9], 0.5
	v_fmac_f64_e32 v[8:9], v[8:9], v[10:11]
	v_fmac_f64_e32 v[6:7], v[6:7], v[10:11]
	v_fma_f64 v[10:11], -v[8:9], v[8:9], v[0:1]
	v_fmac_f64_e32 v[8:9], v[10:11], v[6:7]
	v_fma_f64 v[10:11], -v[8:9], v[8:9], v[0:1]
	v_fmac_f64_e32 v[8:9], v[10:11], v[6:7]
	v_ldexp_f64 v[6:7], v[8:9], v13
	v_cndmask_b32_e32 v1, v7, v1, vcc
	v_cndmask_b32_e32 v0, v6, v0, vcc
	v_xor_b32_e32 v6, 0x80000000, v1
	v_cmp_le_f64_e32 vcc, 0, v[4:5]
	s_nop 1
	v_cndmask_b32_e32 v1, v1, v6, vcc
	v_add_f64 v[4:5], v[4:5], -v[0:1]
	v_div_scale_f64 v[6:7], s[12:13], v[4:5], v[4:5], 1.0
	v_rcp_f64_e32 v[8:9], v[6:7]
	v_div_scale_f64 v[10:11], vcc, 1.0, v[4:5], 1.0
	v_fma_f64 v[12:13], -v[6:7], v[8:9], 1.0
	v_fmac_f64_e32 v[8:9], v[8:9], v[12:13]
	v_fma_f64 v[12:13], -v[6:7], v[8:9], 1.0
	v_fmac_f64_e32 v[8:9], v[8:9], v[12:13]
	v_mul_f64 v[12:13], v[10:11], v[8:9]
	v_fma_f64 v[6:7], -v[6:7], v[12:13], v[10:11]
	v_div_fmas_f64 v[6:7], v[6:7], v[8:9], v[12:13]
	v_div_fixup_f64 v[4:5], v[6:7], v[4:5], 1.0
	global_store_dwordx2 v14, v[4:5], s[8:9]
	flat_load_dwordx2 v[2:3], v[2:3]
	s_waitcnt vmcnt(0) lgkmcnt(0)
	v_add_f64 v[2:3], v[0:1], -v[2:3]
	v_div_scale_f64 v[4:5], s[8:9], v[0:1], v[0:1], v[2:3]
	v_rcp_f64_e32 v[6:7], v[4:5]
	v_div_scale_f64 v[8:9], vcc, v[2:3], v[0:1], v[2:3]
	v_fma_f64 v[10:11], -v[4:5], v[6:7], 1.0
	v_fmac_f64_e32 v[6:7], v[6:7], v[10:11]
	v_fma_f64 v[10:11], -v[4:5], v[6:7], 1.0
	v_fmac_f64_e32 v[6:7], v[6:7], v[10:11]
	v_mul_f64 v[10:11], v[8:9], v[6:7]
	v_fma_f64 v[4:5], -v[4:5], v[10:11], v[8:9]
	v_div_fmas_f64 v[4:5], v[4:5], v[6:7], v[10:11]
	v_div_fixup_f64 v[2:3], v[4:5], v[0:1], v[2:3]
	global_store_dwordx2 v14, v[2:3], s[2:3]
	s_andn2_b64 vcc, exec, s[14:15]
	s_cbranch_vccnz .LBB50_6
.LBB50_11:
	v_mov_b32_e32 v2, 0
	s_waitcnt vmcnt(0) lgkmcnt(0)
	global_store_dwordx2 v2, v[0:1], s[10:11]
	v_mov_b64_e32 v[0:1], 1.0
.LBB50_12:
	v_mov_b64_e32 v[2:3], s[0:1]
	s_waitcnt vmcnt(0) lgkmcnt(0)
	flat_store_dwordx2 v[2:3], v[0:1]
	s_endpgm
	.section	.rodata,"a",@progbits
	.p2align	6, 0x0
	.amdhsa_kernel _ZN9rocsolver6v33100L11set_taubetaIdldPKPdEEvPT_lS6_T2_llPT1_ll
		.amdhsa_group_segment_fixed_size 0
		.amdhsa_private_segment_fixed_size 0
		.amdhsa_kernarg_size 72
		.amdhsa_user_sgpr_count 2
		.amdhsa_user_sgpr_dispatch_ptr 0
		.amdhsa_user_sgpr_queue_ptr 0
		.amdhsa_user_sgpr_kernarg_segment_ptr 1
		.amdhsa_user_sgpr_dispatch_id 0
		.amdhsa_user_sgpr_kernarg_preload_length 0
		.amdhsa_user_sgpr_kernarg_preload_offset 0
		.amdhsa_user_sgpr_private_segment_size 0
		.amdhsa_uses_dynamic_stack 0
		.amdhsa_enable_private_segment 0
		.amdhsa_system_sgpr_workgroup_id_x 1
		.amdhsa_system_sgpr_workgroup_id_y 0
		.amdhsa_system_sgpr_workgroup_id_z 0
		.amdhsa_system_sgpr_workgroup_info 0
		.amdhsa_system_vgpr_workitem_id 0
		.amdhsa_next_free_vgpr 15
		.amdhsa_next_free_sgpr 24
		.amdhsa_accum_offset 16
		.amdhsa_reserve_vcc 1
		.amdhsa_float_round_mode_32 0
		.amdhsa_float_round_mode_16_64 0
		.amdhsa_float_denorm_mode_32 3
		.amdhsa_float_denorm_mode_16_64 3
		.amdhsa_dx10_clamp 1
		.amdhsa_ieee_mode 1
		.amdhsa_fp16_overflow 0
		.amdhsa_tg_split 0
		.amdhsa_exception_fp_ieee_invalid_op 0
		.amdhsa_exception_fp_denorm_src 0
		.amdhsa_exception_fp_ieee_div_zero 0
		.amdhsa_exception_fp_ieee_overflow 0
		.amdhsa_exception_fp_ieee_underflow 0
		.amdhsa_exception_fp_ieee_inexact 0
		.amdhsa_exception_int_div_zero 0
	.end_amdhsa_kernel
	.section	.text._ZN9rocsolver6v33100L11set_taubetaIdldPKPdEEvPT_lS6_T2_llPT1_ll,"axG",@progbits,_ZN9rocsolver6v33100L11set_taubetaIdldPKPdEEvPT_lS6_T2_llPT1_ll,comdat
.Lfunc_end50:
	.size	_ZN9rocsolver6v33100L11set_taubetaIdldPKPdEEvPT_lS6_T2_llPT1_ll, .Lfunc_end50-_ZN9rocsolver6v33100L11set_taubetaIdldPKPdEEvPT_lS6_T2_llPT1_ll
                                        ; -- End function
	.set _ZN9rocsolver6v33100L11set_taubetaIdldPKPdEEvPT_lS6_T2_llPT1_ll.num_vgpr, 15
	.set _ZN9rocsolver6v33100L11set_taubetaIdldPKPdEEvPT_lS6_T2_llPT1_ll.num_agpr, 0
	.set _ZN9rocsolver6v33100L11set_taubetaIdldPKPdEEvPT_lS6_T2_llPT1_ll.numbered_sgpr, 24
	.set _ZN9rocsolver6v33100L11set_taubetaIdldPKPdEEvPT_lS6_T2_llPT1_ll.num_named_barrier, 0
	.set _ZN9rocsolver6v33100L11set_taubetaIdldPKPdEEvPT_lS6_T2_llPT1_ll.private_seg_size, 0
	.set _ZN9rocsolver6v33100L11set_taubetaIdldPKPdEEvPT_lS6_T2_llPT1_ll.uses_vcc, 1
	.set _ZN9rocsolver6v33100L11set_taubetaIdldPKPdEEvPT_lS6_T2_llPT1_ll.uses_flat_scratch, 0
	.set _ZN9rocsolver6v33100L11set_taubetaIdldPKPdEEvPT_lS6_T2_llPT1_ll.has_dyn_sized_stack, 0
	.set _ZN9rocsolver6v33100L11set_taubetaIdldPKPdEEvPT_lS6_T2_llPT1_ll.has_recursion, 0
	.set _ZN9rocsolver6v33100L11set_taubetaIdldPKPdEEvPT_lS6_T2_llPT1_ll.has_indirect_call, 0
	.section	.AMDGPU.csdata,"",@progbits
; Kernel info:
; codeLenInByte = 764
; TotalNumSgprs: 30
; NumVgprs: 15
; NumAgprs: 0
; TotalNumVgprs: 15
; ScratchSize: 0
; MemoryBound: 0
; FloatMode: 240
; IeeeMode: 1
; LDSByteSize: 0 bytes/workgroup (compile time only)
; SGPRBlocks: 3
; VGPRBlocks: 1
; NumSGPRsForWavesPerEU: 30
; NumVGPRsForWavesPerEU: 15
; AccumOffset: 16
; Occupancy: 8
; WaveLimiterHint : 1
; COMPUTE_PGM_RSRC2:SCRATCH_EN: 0
; COMPUTE_PGM_RSRC2:USER_SGPR: 2
; COMPUTE_PGM_RSRC2:TRAP_HANDLER: 0
; COMPUTE_PGM_RSRC2:TGID_X_EN: 1
; COMPUTE_PGM_RSRC2:TGID_Y_EN: 0
; COMPUTE_PGM_RSRC2:TGID_Z_EN: 0
; COMPUTE_PGM_RSRC2:TIDIG_COMP_CNT: 0
; COMPUTE_PGM_RSRC3_GFX90A:ACCUM_OFFSET: 3
; COMPUTE_PGM_RSRC3_GFX90A:TG_SPLIT: 0
	.section	.text._ZN9rocsolver6v33100L13conj_in_placeIdlPdTnNSt9enable_ifIXnt18rocblas_is_complexIT_EEiE4typeELi0EEEvT0_S7_T1_lS7_l,"axG",@progbits,_ZN9rocsolver6v33100L13conj_in_placeIdlPdTnNSt9enable_ifIXnt18rocblas_is_complexIT_EEiE4typeELi0EEEvT0_S7_T1_lS7_l,comdat
	.globl	_ZN9rocsolver6v33100L13conj_in_placeIdlPdTnNSt9enable_ifIXnt18rocblas_is_complexIT_EEiE4typeELi0EEEvT0_S7_T1_lS7_l ; -- Begin function _ZN9rocsolver6v33100L13conj_in_placeIdlPdTnNSt9enable_ifIXnt18rocblas_is_complexIT_EEiE4typeELi0EEEvT0_S7_T1_lS7_l
	.p2align	8
	.type	_ZN9rocsolver6v33100L13conj_in_placeIdlPdTnNSt9enable_ifIXnt18rocblas_is_complexIT_EEiE4typeELi0EEEvT0_S7_T1_lS7_l,@function
_ZN9rocsolver6v33100L13conj_in_placeIdlPdTnNSt9enable_ifIXnt18rocblas_is_complexIT_EEiE4typeELi0EEEvT0_S7_T1_lS7_l: ; @_ZN9rocsolver6v33100L13conj_in_placeIdlPdTnNSt9enable_ifIXnt18rocblas_is_complexIT_EEiE4typeELi0EEEvT0_S7_T1_lS7_l
; %bb.0:
	s_endpgm
	.section	.rodata,"a",@progbits
	.p2align	6, 0x0
	.amdhsa_kernel _ZN9rocsolver6v33100L13conj_in_placeIdlPdTnNSt9enable_ifIXnt18rocblas_is_complexIT_EEiE4typeELi0EEEvT0_S7_T1_lS7_l
		.amdhsa_group_segment_fixed_size 0
		.amdhsa_private_segment_fixed_size 0
		.amdhsa_kernarg_size 48
		.amdhsa_user_sgpr_count 2
		.amdhsa_user_sgpr_dispatch_ptr 0
		.amdhsa_user_sgpr_queue_ptr 0
		.amdhsa_user_sgpr_kernarg_segment_ptr 1
		.amdhsa_user_sgpr_dispatch_id 0
		.amdhsa_user_sgpr_kernarg_preload_length 0
		.amdhsa_user_sgpr_kernarg_preload_offset 0
		.amdhsa_user_sgpr_private_segment_size 0
		.amdhsa_uses_dynamic_stack 0
		.amdhsa_enable_private_segment 0
		.amdhsa_system_sgpr_workgroup_id_x 1
		.amdhsa_system_sgpr_workgroup_id_y 0
		.amdhsa_system_sgpr_workgroup_id_z 0
		.amdhsa_system_sgpr_workgroup_info 0
		.amdhsa_system_vgpr_workitem_id 0
		.amdhsa_next_free_vgpr 1
		.amdhsa_next_free_sgpr 0
		.amdhsa_accum_offset 4
		.amdhsa_reserve_vcc 0
		.amdhsa_float_round_mode_32 0
		.amdhsa_float_round_mode_16_64 0
		.amdhsa_float_denorm_mode_32 3
		.amdhsa_float_denorm_mode_16_64 3
		.amdhsa_dx10_clamp 1
		.amdhsa_ieee_mode 1
		.amdhsa_fp16_overflow 0
		.amdhsa_tg_split 0
		.amdhsa_exception_fp_ieee_invalid_op 0
		.amdhsa_exception_fp_denorm_src 0
		.amdhsa_exception_fp_ieee_div_zero 0
		.amdhsa_exception_fp_ieee_overflow 0
		.amdhsa_exception_fp_ieee_underflow 0
		.amdhsa_exception_fp_ieee_inexact 0
		.amdhsa_exception_int_div_zero 0
	.end_amdhsa_kernel
	.section	.text._ZN9rocsolver6v33100L13conj_in_placeIdlPdTnNSt9enable_ifIXnt18rocblas_is_complexIT_EEiE4typeELi0EEEvT0_S7_T1_lS7_l,"axG",@progbits,_ZN9rocsolver6v33100L13conj_in_placeIdlPdTnNSt9enable_ifIXnt18rocblas_is_complexIT_EEiE4typeELi0EEEvT0_S7_T1_lS7_l,comdat
.Lfunc_end51:
	.size	_ZN9rocsolver6v33100L13conj_in_placeIdlPdTnNSt9enable_ifIXnt18rocblas_is_complexIT_EEiE4typeELi0EEEvT0_S7_T1_lS7_l, .Lfunc_end51-_ZN9rocsolver6v33100L13conj_in_placeIdlPdTnNSt9enable_ifIXnt18rocblas_is_complexIT_EEiE4typeELi0EEEvT0_S7_T1_lS7_l
                                        ; -- End function
	.set _ZN9rocsolver6v33100L13conj_in_placeIdlPdTnNSt9enable_ifIXnt18rocblas_is_complexIT_EEiE4typeELi0EEEvT0_S7_T1_lS7_l.num_vgpr, 0
	.set _ZN9rocsolver6v33100L13conj_in_placeIdlPdTnNSt9enable_ifIXnt18rocblas_is_complexIT_EEiE4typeELi0EEEvT0_S7_T1_lS7_l.num_agpr, 0
	.set _ZN9rocsolver6v33100L13conj_in_placeIdlPdTnNSt9enable_ifIXnt18rocblas_is_complexIT_EEiE4typeELi0EEEvT0_S7_T1_lS7_l.numbered_sgpr, 0
	.set _ZN9rocsolver6v33100L13conj_in_placeIdlPdTnNSt9enable_ifIXnt18rocblas_is_complexIT_EEiE4typeELi0EEEvT0_S7_T1_lS7_l.num_named_barrier, 0
	.set _ZN9rocsolver6v33100L13conj_in_placeIdlPdTnNSt9enable_ifIXnt18rocblas_is_complexIT_EEiE4typeELi0EEEvT0_S7_T1_lS7_l.private_seg_size, 0
	.set _ZN9rocsolver6v33100L13conj_in_placeIdlPdTnNSt9enable_ifIXnt18rocblas_is_complexIT_EEiE4typeELi0EEEvT0_S7_T1_lS7_l.uses_vcc, 0
	.set _ZN9rocsolver6v33100L13conj_in_placeIdlPdTnNSt9enable_ifIXnt18rocblas_is_complexIT_EEiE4typeELi0EEEvT0_S7_T1_lS7_l.uses_flat_scratch, 0
	.set _ZN9rocsolver6v33100L13conj_in_placeIdlPdTnNSt9enable_ifIXnt18rocblas_is_complexIT_EEiE4typeELi0EEEvT0_S7_T1_lS7_l.has_dyn_sized_stack, 0
	.set _ZN9rocsolver6v33100L13conj_in_placeIdlPdTnNSt9enable_ifIXnt18rocblas_is_complexIT_EEiE4typeELi0EEEvT0_S7_T1_lS7_l.has_recursion, 0
	.set _ZN9rocsolver6v33100L13conj_in_placeIdlPdTnNSt9enable_ifIXnt18rocblas_is_complexIT_EEiE4typeELi0EEEvT0_S7_T1_lS7_l.has_indirect_call, 0
	.section	.AMDGPU.csdata,"",@progbits
; Kernel info:
; codeLenInByte = 4
; TotalNumSgprs: 6
; NumVgprs: 0
; NumAgprs: 0
; TotalNumVgprs: 0
; ScratchSize: 0
; MemoryBound: 0
; FloatMode: 240
; IeeeMode: 1
; LDSByteSize: 0 bytes/workgroup (compile time only)
; SGPRBlocks: 0
; VGPRBlocks: 0
; NumSGPRsForWavesPerEU: 6
; NumVGPRsForWavesPerEU: 1
; AccumOffset: 4
; Occupancy: 8
; WaveLimiterHint : 0
; COMPUTE_PGM_RSRC2:SCRATCH_EN: 0
; COMPUTE_PGM_RSRC2:USER_SGPR: 2
; COMPUTE_PGM_RSRC2:TRAP_HANDLER: 0
; COMPUTE_PGM_RSRC2:TGID_X_EN: 1
; COMPUTE_PGM_RSRC2:TGID_Y_EN: 0
; COMPUTE_PGM_RSRC2:TGID_Z_EN: 0
; COMPUTE_PGM_RSRC2:TIDIG_COMP_CNT: 0
; COMPUTE_PGM_RSRC3_GFX90A:ACCUM_OFFSET: 0
; COMPUTE_PGM_RSRC3_GFX90A:TG_SPLIT: 0
	.section	.text._ZN9rocsolver6v33100L16larf_left_kernelILi1024EdlPKPdEEvT1_S5_T2_lS5_lPKT0_lS6_lS5_l,"axG",@progbits,_ZN9rocsolver6v33100L16larf_left_kernelILi1024EdlPKPdEEvT1_S5_T2_lS5_lPKT0_lS6_lS5_l,comdat
	.globl	_ZN9rocsolver6v33100L16larf_left_kernelILi1024EdlPKPdEEvT1_S5_T2_lS5_lPKT0_lS6_lS5_l ; -- Begin function _ZN9rocsolver6v33100L16larf_left_kernelILi1024EdlPKPdEEvT1_S5_T2_lS5_lPKT0_lS6_lS5_l
	.p2align	8
	.type	_ZN9rocsolver6v33100L16larf_left_kernelILi1024EdlPKPdEEvT1_S5_T2_lS5_lPKT0_lS6_lS5_l,@function
_ZN9rocsolver6v33100L16larf_left_kernelILi1024EdlPKPdEEvT1_S5_T2_lS5_lPKT0_lS6_lS5_l: ; @_ZN9rocsolver6v33100L16larf_left_kernelILi1024EdlPKPdEEvT1_S5_T2_lS5_lPKT0_lS6_lS5_l
; %bb.0:
	s_load_dwordx2 s[6:7], s[0:1], 0x0
	s_load_dwordx4 s[16:19], s[0:1], 0x10
	s_load_dwordx2 s[20:21], s[0:1], 0x20
	s_load_dwordx8 s[8:15], s[0:1], 0x30
	s_load_dwordx2 s[22:23], s[0:1], 0x50
	s_mov_b32 s5, 0
	s_lshl_b64 s[24:25], s[4:5], 3
	s_waitcnt lgkmcnt(0)
	s_add_u32 s0, s16, s24
	s_addc_u32 s1, s17, s25
	s_add_u32 s12, s12, s24
	s_addc_u32 s13, s13, s25
	s_load_dwordx2 s[12:13], s[12:13], 0x0
	v_cmp_gt_i64_e64 s[16:17], s[20:21], 0
	s_mov_b64 s[24:25], 0
	s_and_b64 vcc, exec, s[16:17]
	s_cbranch_vccnz .LBB52_2
; %bb.1:
	s_sub_u32 s2, 1, s6
	s_subb_u32 s5, 0, s7
	s_mul_i32 s5, s20, s5
	s_mul_hi_u32 s16, s20, s2
	s_add_i32 s5, s16, s5
	s_mul_i32 s16, s21, s2
	s_add_i32 s25, s5, s16
	s_mul_i32 s24, s20, s2
.LBB52_2:
	v_mov_b32_e32 v1, 0
	v_cmp_gt_i64_e32 vcc, s[6:7], v[0:1]
	v_mov_b64_e32 v[2:3], 0
	s_mul_i32 s5, s23, s3
	s_mul_hi_u32 s26, s22, s3
	s_mul_i32 s2, s22, s3
	s_and_saveexec_b64 s[16:17], vcc
	s_cbranch_execz .LBB52_8
; %bb.3:
	s_load_dwordx2 s[0:1], s[0:1], 0x0
	v_mad_u64_u32 v[2:3], s[22:23], s20, v0, 0
	v_mov_b32_e32 v4, v3
	v_mad_u64_u32 v[4:5], s[22:23], s21, v0, v[4:5]
	s_lshl_b64 s[22:23], s[24:25], 3
	s_lshl_b64 s[18:19], s[18:19], 3
	s_waitcnt lgkmcnt(0)
	s_add_u32 s0, s0, s18
	s_addc_u32 s1, s1, s19
	v_mov_b32_e32 v3, v4
	s_add_u32 s0, s0, s22
	v_lshl_add_u32 v4, v0, 3, 0
	s_addc_u32 s1, s1, s23
	v_add_u32_e32 v8, 0x80, v4
	v_lshl_add_u64 v[2:3], v[2:3], 3, s[0:1]
	s_lshl_b64 s[18:19], s[20:21], 13
	s_mov_b64 s[20:21], 0
	s_mov_b64 s[22:23], 0x400
	v_mov_b32_e32 v6, v8
	v_mov_b64_e32 v[4:5], v[0:1]
.LBB52_4:                               ; =>This Inner Loop Header: Depth=1
	flat_load_dwordx2 v[10:11], v[2:3]
	v_lshl_add_u64 v[4:5], v[4:5], 0, s[22:23]
	v_cmp_le_i64_e64 s[0:1], s[6:7], v[4:5]
	v_lshl_add_u64 v[2:3], v[2:3], 0, s[18:19]
	s_or_b64 s[20:21], s[0:1], s[20:21]
	s_waitcnt vmcnt(0) lgkmcnt(0)
	ds_write_b64 v6, v[10:11]
	v_add_u32_e32 v6, 0x2000, v6
	s_andn2_b64 exec, exec, s[20:21]
	s_cbranch_execnz .LBB52_4
; %bb.5:
	s_or_b64 exec, exec, s[20:21]
	s_add_i32 s3, s26, s5
	s_lshl_b64 s[0:1], s[2:3], 3
	s_lshl_b64 s[18:19], s[14:15], 3
	s_add_u32 s0, s0, s18
	s_addc_u32 s1, s1, s19
	s_add_u32 s0, s12, s0
	v_lshlrev_b32_e32 v2, 3, v0
	v_mov_b32_e32 v3, 0
	s_addc_u32 s1, s13, s1
	v_lshl_add_u64 v[4:5], s[0:1], 0, v[2:3]
	v_mov_b64_e32 v[2:3], 0
	s_mov_b64 s[18:19], 0
	s_mov_b64 s[20:21], 0x400
	;; [unrolled: 1-line block ×3, first 2 shown]
	v_mov_b64_e32 v[6:7], v[0:1]
.LBB52_6:                               ; =>This Inner Loop Header: Depth=1
	flat_load_dwordx2 v[10:11], v[4:5]
	ds_read_b64 v[12:13], v8
	v_lshl_add_u64 v[6:7], v[6:7], 0, s[20:21]
	v_cmp_le_i64_e64 s[0:1], s[6:7], v[6:7]
	v_lshl_add_u64 v[4:5], v[4:5], 0, s[22:23]
	v_add_u32_e32 v8, 0x2000, v8
	s_or_b64 s[18:19], s[0:1], s[18:19]
	s_waitcnt vmcnt(0) lgkmcnt(0)
	v_fmac_f64_e32 v[2:3], v[10:11], v[12:13]
	s_andn2_b64 exec, exec, s[18:19]
	s_cbranch_execnz .LBB52_6
; %bb.7:
	s_or_b64 exec, exec, s[18:19]
.LBB52_8:
	s_or_b64 exec, exec, s[16:17]
	v_mbcnt_lo_u32_b32 v4, -1, 0
	v_mbcnt_hi_u32_b32 v6, -1, v4
	v_and_b32_e32 v7, 63, v6
	v_cmp_ne_u32_e64 s[0:1], 63, v7
	s_nop 1
	v_addc_co_u32_e64 v4, s[0:1], 0, v6, s[0:1]
	v_lshlrev_b32_e32 v5, 2, v4
	ds_bpermute_b32 v4, v5, v2
	ds_bpermute_b32 v5, v5, v3
	v_cmp_gt_u32_e64 s[0:1], 62, v7
	s_waitcnt lgkmcnt(0)
	v_add_f64 v[2:3], v[2:3], v[4:5]
	v_cndmask_b32_e64 v4, 0, 2, s[0:1]
	v_add_lshl_u32 v5, v4, v6, 2
	ds_bpermute_b32 v4, v5, v2
	ds_bpermute_b32 v5, v5, v3
	v_cmp_gt_u32_e64 s[0:1], 60, v7
	s_waitcnt lgkmcnt(0)
	v_add_f64 v[2:3], v[2:3], v[4:5]
	v_cndmask_b32_e64 v4, 0, 4, s[0:1]
	v_add_lshl_u32 v5, v4, v6, 2
	;; [unrolled: 7-line block ×3, first 2 shown]
	ds_bpermute_b32 v4, v5, v2
	ds_bpermute_b32 v5, v5, v3
	v_cmp_gt_u32_e64 s[0:1], 48, v7
	v_mov_b32_e32 v7, 0x80
	s_waitcnt lgkmcnt(0)
	v_add_f64 v[2:3], v[2:3], v[4:5]
	v_cndmask_b32_e64 v4, 0, 16, s[0:1]
	v_add_lshl_u32 v5, v4, v6, 2
	ds_bpermute_b32 v4, v5, v2
	ds_bpermute_b32 v5, v5, v3
	s_waitcnt lgkmcnt(0)
	v_add_f64 v[2:3], v[2:3], v[4:5]
	v_lshl_or_b32 v5, v6, 2, v7
	ds_bpermute_b32 v4, v5, v2
	ds_bpermute_b32 v5, v5, v3
	v_and_b32_e32 v6, 63, v0
	v_cmp_eq_u32_e64 s[0:1], 0, v6
	s_waitcnt lgkmcnt(0)
	v_add_f64 v[2:3], v[2:3], v[4:5]
	s_and_saveexec_b64 s[16:17], s[0:1]
; %bb.9:
	v_lshrrev_b32_e32 v4, 3, v0
	v_add_u32_e32 v4, 0, v4
	ds_write_b64 v4, v[2:3]
; %bb.10:
	s_or_b64 exec, exec, s[16:17]
	v_cmp_eq_u32_e64 s[0:1], 0, v0
	s_waitcnt lgkmcnt(0)
	s_barrier
	s_and_saveexec_b64 s[16:17], s[0:1]
	s_cbranch_execz .LBB52_12
; %bb.11:
	v_mov_b32_e32 v24, 0
	ds_read2_b64 v[4:7], v24 offset0:1 offset1:2
	ds_read2_b64 v[8:11], v24 offset0:3 offset1:4
	;; [unrolled: 1-line block ×5, first 2 shown]
	s_waitcnt lgkmcnt(4)
	v_add_f64 v[2:3], v[2:3], v[4:5]
	v_add_f64 v[2:3], v[2:3], v[6:7]
	s_waitcnt lgkmcnt(3)
	v_add_f64 v[2:3], v[2:3], v[8:9]
	v_add_f64 v[2:3], v[2:3], v[10:11]
	;; [unrolled: 3-line block ×4, first 2 shown]
	ds_read2_b64 v[2:5], v24 offset0:11 offset1:12
	s_waitcnt lgkmcnt(1)
	v_add_f64 v[10:11], v[6:7], v[20:21]
	ds_read2_b64 v[6:9], v24 offset0:13 offset1:14
	v_add_f64 v[10:11], v[10:11], v[22:23]
	ds_read_b64 v[12:13], v24 offset:120
	s_waitcnt lgkmcnt(2)
	v_add_f64 v[2:3], v[10:11], v[2:3]
	v_add_f64 v[2:3], v[2:3], v[4:5]
	s_waitcnt lgkmcnt(1)
	v_add_f64 v[2:3], v[2:3], v[6:7]
	v_add_f64 v[2:3], v[2:3], v[8:9]
	s_waitcnt lgkmcnt(0)
	v_add_f64 v[2:3], v[2:3], v[12:13]
	ds_write_b64 v24, v[2:3]
.LBB52_12:
	s_or_b64 exec, exec, s[16:17]
	s_waitcnt lgkmcnt(0)
	s_barrier
	s_and_saveexec_b64 s[0:1], vcc
	s_cbranch_execz .LBB52_15
; %bb.13:
	s_mul_i32 s0, s11, s4
	s_mul_hi_u32 s1, s10, s4
	s_add_i32 s1, s1, s0
	s_mul_i32 s0, s10, s4
	s_lshl_b64 s[0:1], s[0:1], 3
	s_add_u32 s0, s8, s0
	s_addc_u32 s1, s9, s1
	v_mov_b32_e32 v7, 0
	ds_read_b64 v[2:3], v7
	s_load_dwordx2 s[0:1], s[0:1], 0x0
	s_add_i32 s3, s26, s5
	v_lshlrev_b32_e32 v6, 3, v0
	s_mov_b64 s[4:5], 0x2000
	s_waitcnt lgkmcnt(0)
	v_mul_f64 v[2:3], v[2:3], -s[0:1]
	s_lshl_b64 s[0:1], s[2:3], 3
	s_lshl_b64 s[2:3], s[14:15], 3
	s_add_u32 s0, s0, s2
	s_addc_u32 s1, s1, s3
	s_add_u32 s0, s12, s0
	s_addc_u32 s1, s13, s1
	v_lshl_add_u64 v[4:5], s[0:1], 0, v[6:7]
	v_add_u32_e32 v6, 0, v6
	v_add_u32_e32 v6, 0x80, v6
	s_mov_b64 s[0:1], 0
	s_mov_b64 s[2:3], 0x400
.LBB52_14:                              ; =>This Inner Loop Header: Depth=1
	flat_load_dwordx2 v[8:9], v[4:5]
	ds_read_b64 v[10:11], v6
	v_lshl_add_u64 v[0:1], v[0:1], 0, s[2:3]
	v_cmp_le_i64_e32 vcc, s[6:7], v[0:1]
	s_or_b64 s[0:1], vcc, s[0:1]
	v_add_u32_e32 v6, 0x2000, v6
	s_waitcnt vmcnt(0) lgkmcnt(0)
	v_fmac_f64_e32 v[8:9], v[2:3], v[10:11]
	flat_store_dwordx2 v[4:5], v[8:9]
	v_lshl_add_u64 v[4:5], v[4:5], 0, s[4:5]
	s_andn2_b64 exec, exec, s[0:1]
	s_cbranch_execnz .LBB52_14
.LBB52_15:
	s_endpgm
	.section	.rodata,"a",@progbits
	.p2align	6, 0x0
	.amdhsa_kernel _ZN9rocsolver6v33100L16larf_left_kernelILi1024EdlPKPdEEvT1_S5_T2_lS5_lPKT0_lS6_lS5_l
		.amdhsa_group_segment_fixed_size 0
		.amdhsa_private_segment_fixed_size 0
		.amdhsa_kernarg_size 96
		.amdhsa_user_sgpr_count 2
		.amdhsa_user_sgpr_dispatch_ptr 0
		.amdhsa_user_sgpr_queue_ptr 0
		.amdhsa_user_sgpr_kernarg_segment_ptr 1
		.amdhsa_user_sgpr_dispatch_id 0
		.amdhsa_user_sgpr_kernarg_preload_length 0
		.amdhsa_user_sgpr_kernarg_preload_offset 0
		.amdhsa_user_sgpr_private_segment_size 0
		.amdhsa_uses_dynamic_stack 0
		.amdhsa_enable_private_segment 0
		.amdhsa_system_sgpr_workgroup_id_x 1
		.amdhsa_system_sgpr_workgroup_id_y 1
		.amdhsa_system_sgpr_workgroup_id_z 1
		.amdhsa_system_sgpr_workgroup_info 0
		.amdhsa_system_vgpr_workitem_id 0
		.amdhsa_next_free_vgpr 25
		.amdhsa_next_free_sgpr 27
		.amdhsa_accum_offset 28
		.amdhsa_reserve_vcc 1
		.amdhsa_float_round_mode_32 0
		.amdhsa_float_round_mode_16_64 0
		.amdhsa_float_denorm_mode_32 3
		.amdhsa_float_denorm_mode_16_64 3
		.amdhsa_dx10_clamp 1
		.amdhsa_ieee_mode 1
		.amdhsa_fp16_overflow 0
		.amdhsa_tg_split 0
		.amdhsa_exception_fp_ieee_invalid_op 0
		.amdhsa_exception_fp_denorm_src 0
		.amdhsa_exception_fp_ieee_div_zero 0
		.amdhsa_exception_fp_ieee_overflow 0
		.amdhsa_exception_fp_ieee_underflow 0
		.amdhsa_exception_fp_ieee_inexact 0
		.amdhsa_exception_int_div_zero 0
	.end_amdhsa_kernel
	.section	.text._ZN9rocsolver6v33100L16larf_left_kernelILi1024EdlPKPdEEvT1_S5_T2_lS5_lPKT0_lS6_lS5_l,"axG",@progbits,_ZN9rocsolver6v33100L16larf_left_kernelILi1024EdlPKPdEEvT1_S5_T2_lS5_lPKT0_lS6_lS5_l,comdat
.Lfunc_end52:
	.size	_ZN9rocsolver6v33100L16larf_left_kernelILi1024EdlPKPdEEvT1_S5_T2_lS5_lPKT0_lS6_lS5_l, .Lfunc_end52-_ZN9rocsolver6v33100L16larf_left_kernelILi1024EdlPKPdEEvT1_S5_T2_lS5_lPKT0_lS6_lS5_l
                                        ; -- End function
	.set _ZN9rocsolver6v33100L16larf_left_kernelILi1024EdlPKPdEEvT1_S5_T2_lS5_lPKT0_lS6_lS5_l.num_vgpr, 25
	.set _ZN9rocsolver6v33100L16larf_left_kernelILi1024EdlPKPdEEvT1_S5_T2_lS5_lPKT0_lS6_lS5_l.num_agpr, 0
	.set _ZN9rocsolver6v33100L16larf_left_kernelILi1024EdlPKPdEEvT1_S5_T2_lS5_lPKT0_lS6_lS5_l.numbered_sgpr, 27
	.set _ZN9rocsolver6v33100L16larf_left_kernelILi1024EdlPKPdEEvT1_S5_T2_lS5_lPKT0_lS6_lS5_l.num_named_barrier, 0
	.set _ZN9rocsolver6v33100L16larf_left_kernelILi1024EdlPKPdEEvT1_S5_T2_lS5_lPKT0_lS6_lS5_l.private_seg_size, 0
	.set _ZN9rocsolver6v33100L16larf_left_kernelILi1024EdlPKPdEEvT1_S5_T2_lS5_lPKT0_lS6_lS5_l.uses_vcc, 1
	.set _ZN9rocsolver6v33100L16larf_left_kernelILi1024EdlPKPdEEvT1_S5_T2_lS5_lPKT0_lS6_lS5_l.uses_flat_scratch, 0
	.set _ZN9rocsolver6v33100L16larf_left_kernelILi1024EdlPKPdEEvT1_S5_T2_lS5_lPKT0_lS6_lS5_l.has_dyn_sized_stack, 0
	.set _ZN9rocsolver6v33100L16larf_left_kernelILi1024EdlPKPdEEvT1_S5_T2_lS5_lPKT0_lS6_lS5_l.has_recursion, 0
	.set _ZN9rocsolver6v33100L16larf_left_kernelILi1024EdlPKPdEEvT1_S5_T2_lS5_lPKT0_lS6_lS5_l.has_indirect_call, 0
	.section	.AMDGPU.csdata,"",@progbits
; Kernel info:
; codeLenInByte = 1324
; TotalNumSgprs: 33
; NumVgprs: 25
; NumAgprs: 0
; TotalNumVgprs: 25
; ScratchSize: 0
; MemoryBound: 0
; FloatMode: 240
; IeeeMode: 1
; LDSByteSize: 0 bytes/workgroup (compile time only)
; SGPRBlocks: 4
; VGPRBlocks: 3
; NumSGPRsForWavesPerEU: 33
; NumVGPRsForWavesPerEU: 25
; AccumOffset: 28
; Occupancy: 8
; WaveLimiterHint : 0
; COMPUTE_PGM_RSRC2:SCRATCH_EN: 0
; COMPUTE_PGM_RSRC2:USER_SGPR: 2
; COMPUTE_PGM_RSRC2:TRAP_HANDLER: 0
; COMPUTE_PGM_RSRC2:TGID_X_EN: 1
; COMPUTE_PGM_RSRC2:TGID_Y_EN: 1
; COMPUTE_PGM_RSRC2:TGID_Z_EN: 1
; COMPUTE_PGM_RSRC2:TIDIG_COMP_CNT: 0
; COMPUTE_PGM_RSRC3_GFX90A:ACCUM_OFFSET: 6
; COMPUTE_PGM_RSRC3_GFX90A:TG_SPLIT: 0
	.section	.text._ZN9rocsolver6v33100L17larf_right_kernelILi1024EdlPKPdEEvT1_S5_T2_lS5_lPKT0_lS6_lS5_l,"axG",@progbits,_ZN9rocsolver6v33100L17larf_right_kernelILi1024EdlPKPdEEvT1_S5_T2_lS5_lPKT0_lS6_lS5_l,comdat
	.globl	_ZN9rocsolver6v33100L17larf_right_kernelILi1024EdlPKPdEEvT1_S5_T2_lS5_lPKT0_lS6_lS5_l ; -- Begin function _ZN9rocsolver6v33100L17larf_right_kernelILi1024EdlPKPdEEvT1_S5_T2_lS5_lPKT0_lS6_lS5_l
	.p2align	8
	.type	_ZN9rocsolver6v33100L17larf_right_kernelILi1024EdlPKPdEEvT1_S5_T2_lS5_lPKT0_lS6_lS5_l,@function
_ZN9rocsolver6v33100L17larf_right_kernelILi1024EdlPKPdEEvT1_S5_T2_lS5_lPKT0_lS6_lS5_l: ; @_ZN9rocsolver6v33100L17larf_right_kernelILi1024EdlPKPdEEvT1_S5_T2_lS5_lPKT0_lS6_lS5_l
; %bb.0:
	s_mov_b32 s2, s3
	s_load_dwordx8 s[8:15], s[0:1], 0x8
	s_load_dwordx8 s[16:23], s[0:1], 0x30
	s_load_dwordx2 s[6:7], s[0:1], 0x50
	s_mov_b32 s3, 0
	s_mov_b32 s5, s3
	s_lshl_b64 s[24:25], s[4:5], 3
	s_waitcnt lgkmcnt(0)
	s_add_u32 s0, s10, s24
	s_addc_u32 s1, s11, s25
	s_add_u32 s10, s20, s24
	s_addc_u32 s11, s21, s25
	s_load_dwordx2 s[10:11], s[10:11], 0x0
	v_cmp_gt_i64_e64 s[20:21], s[14:15], 0
	s_mov_b64 s[24:25], 0
	s_and_b64 vcc, exec, s[20:21]
	s_cbranch_vccnz .LBB53_2
; %bb.1:
	s_sub_u32 s5, 1, s8
	s_subb_u32 s20, 0, s9
	s_mul_i32 s20, s14, s20
	s_mul_hi_u32 s21, s14, s5
	s_add_i32 s20, s21, s20
	s_mul_i32 s21, s15, s5
	s_add_i32 s25, s20, s21
	s_mul_i32 s24, s14, s5
.LBB53_2:
	v_mov_b32_e32 v1, 0
	v_cmp_gt_i64_e32 vcc, s[8:9], v[0:1]
	v_mov_b64_e32 v[2:3], 0
	v_lshl_add_u32 v8, v0, 3, 0
	s_and_saveexec_b64 s[20:21], vcc
	s_cbranch_execz .LBB53_8
; %bb.3:
	s_load_dwordx2 s[0:1], s[0:1], 0x0
	s_lshl_b64 s[24:25], s[24:25], 3
	s_lshl_b64 s[12:13], s[12:13], 3
	v_mad_u64_u32 v[2:3], s[26:27], s14, v0, 0
	s_waitcnt lgkmcnt(0)
	s_add_u32 s0, s0, s12
	v_mov_b32_e32 v4, v3
	s_addc_u32 s1, s1, s13
	v_mad_u64_u32 v[4:5], s[26:27], s15, v0, v[4:5]
	s_add_u32 s0, s0, s24
	v_mov_b32_e32 v3, v4
	s_addc_u32 s1, s1, s25
	v_add_u32_e32 v9, 0x80, v8
	v_lshl_add_u64 v[2:3], v[2:3], 3, s[0:1]
	s_lshl_b64 s[12:13], s[14:15], 13
	s_mov_b64 s[14:15], 0
	s_mov_b64 s[24:25], 0x400
	v_mov_b32_e32 v6, v9
	v_mov_b64_e32 v[4:5], v[0:1]
.LBB53_4:                               ; =>This Inner Loop Header: Depth=1
	flat_load_dwordx2 v[10:11], v[2:3]
	v_lshl_add_u64 v[4:5], v[4:5], 0, s[24:25]
	v_cmp_le_i64_e64 s[0:1], s[8:9], v[4:5]
	v_lshl_add_u64 v[2:3], v[2:3], 0, s[12:13]
	s_or_b64 s[14:15], s[0:1], s[14:15]
	s_waitcnt vmcnt(0) lgkmcnt(0)
	ds_write_b64 v6, v[10:11]
	v_add_u32_e32 v6, 0x2000, v6
	s_andn2_b64 exec, exec, s[14:15]
	s_cbranch_execnz .LBB53_4
; %bb.5:
	s_or_b64 exec, exec, s[14:15]
	v_mad_u64_u32 v[2:3], s[0:1], s6, v0, 0
	v_mov_b32_e32 v4, v3
	v_mad_u64_u32 v[4:5], s[0:1], s7, v0, v[4:5]
	s_lshl_b64 s[0:1], s[22:23], 3
	s_lshl_b64 s[12:13], s[2:3], 3
	s_add_u32 s5, s10, s12
	s_addc_u32 s12, s11, s13
	s_add_u32 s0, s5, s0
	v_mov_b32_e32 v3, v4
	s_addc_u32 s1, s12, s1
	v_lshl_add_u64 v[4:5], v[2:3], 3, s[0:1]
	s_lshl_b64 s[12:13], s[6:7], 13
	v_mov_b64_e32 v[2:3], 0
	s_mov_b64 s[14:15], 0
	s_mov_b64 s[24:25], 0x400
	v_mov_b64_e32 v[6:7], v[0:1]
.LBB53_6:                               ; =>This Inner Loop Header: Depth=1
	flat_load_dwordx2 v[10:11], v[4:5]
	ds_read_b64 v[12:13], v9
	v_lshl_add_u64 v[6:7], v[6:7], 0, s[24:25]
	v_cmp_le_i64_e64 s[0:1], s[8:9], v[6:7]
	v_lshl_add_u64 v[4:5], v[4:5], 0, s[12:13]
	v_add_u32_e32 v9, 0x2000, v9
	s_or_b64 s[14:15], s[0:1], s[14:15]
	s_waitcnt vmcnt(0) lgkmcnt(0)
	v_fmac_f64_e32 v[2:3], v[10:11], v[12:13]
	s_andn2_b64 exec, exec, s[14:15]
	s_cbranch_execnz .LBB53_6
; %bb.7:
	s_or_b64 exec, exec, s[14:15]
.LBB53_8:
	s_or_b64 exec, exec, s[20:21]
	v_mbcnt_lo_u32_b32 v4, -1, 0
	v_mbcnt_hi_u32_b32 v6, -1, v4
	v_and_b32_e32 v7, 63, v6
	v_cmp_ne_u32_e64 s[0:1], 63, v7
	s_nop 1
	v_addc_co_u32_e64 v4, s[0:1], 0, v6, s[0:1]
	v_lshlrev_b32_e32 v5, 2, v4
	ds_bpermute_b32 v4, v5, v2
	ds_bpermute_b32 v5, v5, v3
	v_cmp_gt_u32_e64 s[0:1], 62, v7
	s_waitcnt lgkmcnt(0)
	v_add_f64 v[2:3], v[2:3], v[4:5]
	v_cndmask_b32_e64 v4, 0, 2, s[0:1]
	v_add_lshl_u32 v5, v4, v6, 2
	ds_bpermute_b32 v4, v5, v2
	ds_bpermute_b32 v5, v5, v3
	v_cmp_gt_u32_e64 s[0:1], 60, v7
	s_waitcnt lgkmcnt(0)
	v_add_f64 v[2:3], v[2:3], v[4:5]
	v_cndmask_b32_e64 v4, 0, 4, s[0:1]
	v_add_lshl_u32 v5, v4, v6, 2
	;; [unrolled: 7-line block ×3, first 2 shown]
	ds_bpermute_b32 v4, v5, v2
	ds_bpermute_b32 v5, v5, v3
	v_cmp_gt_u32_e64 s[0:1], 48, v7
	v_mov_b32_e32 v7, 0x80
	s_waitcnt lgkmcnt(0)
	v_add_f64 v[2:3], v[2:3], v[4:5]
	v_cndmask_b32_e64 v4, 0, 16, s[0:1]
	v_add_lshl_u32 v5, v4, v6, 2
	ds_bpermute_b32 v4, v5, v2
	ds_bpermute_b32 v5, v5, v3
	s_waitcnt lgkmcnt(0)
	v_add_f64 v[2:3], v[2:3], v[4:5]
	v_lshl_or_b32 v5, v6, 2, v7
	ds_bpermute_b32 v4, v5, v2
	ds_bpermute_b32 v5, v5, v3
	v_and_b32_e32 v6, 63, v0
	v_cmp_eq_u32_e64 s[0:1], 0, v6
	s_waitcnt lgkmcnt(0)
	v_add_f64 v[2:3], v[2:3], v[4:5]
	s_and_saveexec_b64 s[12:13], s[0:1]
; %bb.9:
	v_lshrrev_b32_e32 v4, 3, v0
	v_add_u32_e32 v4, 0, v4
	ds_write_b64 v4, v[2:3]
; %bb.10:
	s_or_b64 exec, exec, s[12:13]
	v_cmp_eq_u32_e64 s[0:1], 0, v0
	s_waitcnt lgkmcnt(0)
	s_barrier
	s_and_saveexec_b64 s[12:13], s[0:1]
	s_cbranch_execz .LBB53_12
; %bb.11:
	v_mov_b32_e32 v9, 0
	ds_read2_b64 v[4:7], v9 offset0:1 offset1:2
	ds_read2_b64 v[10:13], v9 offset0:3 offset1:4
	;; [unrolled: 1-line block ×5, first 2 shown]
	s_waitcnt lgkmcnt(4)
	v_add_f64 v[2:3], v[2:3], v[4:5]
	v_add_f64 v[2:3], v[2:3], v[6:7]
	s_waitcnt lgkmcnt(3)
	v_add_f64 v[2:3], v[2:3], v[10:11]
	v_add_f64 v[2:3], v[2:3], v[12:13]
	;; [unrolled: 3-line block ×4, first 2 shown]
	ds_read2_b64 v[2:5], v9 offset0:11 offset1:12
	ds_read2_b64 v[10:13], v9 offset0:13 offset1:14
	s_waitcnt lgkmcnt(2)
	v_add_f64 v[6:7], v[6:7], v[22:23]
	v_add_f64 v[6:7], v[6:7], v[24:25]
	ds_read_b64 v[14:15], v9 offset:120
	s_waitcnt lgkmcnt(2)
	v_add_f64 v[2:3], v[6:7], v[2:3]
	v_add_f64 v[2:3], v[2:3], v[4:5]
	s_waitcnt lgkmcnt(1)
	v_add_f64 v[2:3], v[2:3], v[10:11]
	v_add_f64 v[2:3], v[2:3], v[12:13]
	s_waitcnt lgkmcnt(0)
	v_add_f64 v[2:3], v[2:3], v[14:15]
	ds_write_b64 v9, v[2:3]
.LBB53_12:
	s_or_b64 exec, exec, s[12:13]
	s_waitcnt lgkmcnt(0)
	s_barrier
	s_and_saveexec_b64 s[0:1], vcc
	s_cbranch_execz .LBB53_15
; %bb.13:
	s_mul_i32 s0, s19, s4
	s_mul_hi_u32 s1, s18, s4
	s_add_i32 s1, s1, s0
	s_mul_i32 s0, s18, s4
	s_lshl_b64 s[0:1], s[0:1], 3
	s_add_u32 s0, s16, s0
	s_addc_u32 s1, s17, s1
	v_mov_b32_e32 v2, 0
	ds_read_b64 v[2:3], v2
	s_load_dwordx2 s[0:1], s[0:1], 0x0
	s_lshl_b64 s[2:3], s[2:3], 3
	s_mov_b64 s[4:5], 0x400
	s_waitcnt lgkmcnt(0)
	v_mul_f64 v[2:3], v[2:3], -s[0:1]
	v_mad_u64_u32 v[4:5], s[0:1], s6, v0, 0
	v_mov_b32_e32 v6, v5
	v_mad_u64_u32 v[6:7], s[0:1], s7, v0, v[6:7]
	s_lshl_b64 s[0:1], s[22:23], 3
	s_add_u32 s2, s10, s2
	s_addc_u32 s3, s11, s3
	s_add_u32 s0, s2, s0
	v_mov_b32_e32 v5, v6
	s_addc_u32 s1, s3, s1
	v_lshl_add_u64 v[4:5], v[4:5], 3, s[0:1]
	s_lshl_b64 s[0:1], s[6:7], 13
	v_add_u32_e32 v6, 0x80, v8
	s_mov_b64 s[2:3], 0
.LBB53_14:                              ; =>This Inner Loop Header: Depth=1
	flat_load_dwordx2 v[8:9], v[4:5]
	ds_read_b64 v[10:11], v6
	v_lshl_add_u64 v[0:1], v[0:1], 0, s[4:5]
	v_cmp_le_i64_e32 vcc, s[8:9], v[0:1]
	s_or_b64 s[2:3], vcc, s[2:3]
	v_add_u32_e32 v6, 0x2000, v6
	s_waitcnt vmcnt(0) lgkmcnt(0)
	v_fmac_f64_e32 v[8:9], v[2:3], v[10:11]
	flat_store_dwordx2 v[4:5], v[8:9]
	v_lshl_add_u64 v[4:5], v[4:5], 0, s[0:1]
	s_andn2_b64 exec, exec, s[2:3]
	s_cbranch_execnz .LBB53_14
.LBB53_15:
	s_endpgm
	.section	.rodata,"a",@progbits
	.p2align	6, 0x0
	.amdhsa_kernel _ZN9rocsolver6v33100L17larf_right_kernelILi1024EdlPKPdEEvT1_S5_T2_lS5_lPKT0_lS6_lS5_l
		.amdhsa_group_segment_fixed_size 0
		.amdhsa_private_segment_fixed_size 0
		.amdhsa_kernarg_size 96
		.amdhsa_user_sgpr_count 2
		.amdhsa_user_sgpr_dispatch_ptr 0
		.amdhsa_user_sgpr_queue_ptr 0
		.amdhsa_user_sgpr_kernarg_segment_ptr 1
		.amdhsa_user_sgpr_dispatch_id 0
		.amdhsa_user_sgpr_kernarg_preload_length 0
		.amdhsa_user_sgpr_kernarg_preload_offset 0
		.amdhsa_user_sgpr_private_segment_size 0
		.amdhsa_uses_dynamic_stack 0
		.amdhsa_enable_private_segment 0
		.amdhsa_system_sgpr_workgroup_id_x 1
		.amdhsa_system_sgpr_workgroup_id_y 1
		.amdhsa_system_sgpr_workgroup_id_z 1
		.amdhsa_system_sgpr_workgroup_info 0
		.amdhsa_system_vgpr_workitem_id 0
		.amdhsa_next_free_vgpr 26
		.amdhsa_next_free_sgpr 28
		.amdhsa_accum_offset 28
		.amdhsa_reserve_vcc 1
		.amdhsa_float_round_mode_32 0
		.amdhsa_float_round_mode_16_64 0
		.amdhsa_float_denorm_mode_32 3
		.amdhsa_float_denorm_mode_16_64 3
		.amdhsa_dx10_clamp 1
		.amdhsa_ieee_mode 1
		.amdhsa_fp16_overflow 0
		.amdhsa_tg_split 0
		.amdhsa_exception_fp_ieee_invalid_op 0
		.amdhsa_exception_fp_denorm_src 0
		.amdhsa_exception_fp_ieee_div_zero 0
		.amdhsa_exception_fp_ieee_overflow 0
		.amdhsa_exception_fp_ieee_underflow 0
		.amdhsa_exception_fp_ieee_inexact 0
		.amdhsa_exception_int_div_zero 0
	.end_amdhsa_kernel
	.section	.text._ZN9rocsolver6v33100L17larf_right_kernelILi1024EdlPKPdEEvT1_S5_T2_lS5_lPKT0_lS6_lS5_l,"axG",@progbits,_ZN9rocsolver6v33100L17larf_right_kernelILi1024EdlPKPdEEvT1_S5_T2_lS5_lPKT0_lS6_lS5_l,comdat
.Lfunc_end53:
	.size	_ZN9rocsolver6v33100L17larf_right_kernelILi1024EdlPKPdEEvT1_S5_T2_lS5_lPKT0_lS6_lS5_l, .Lfunc_end53-_ZN9rocsolver6v33100L17larf_right_kernelILi1024EdlPKPdEEvT1_S5_T2_lS5_lPKT0_lS6_lS5_l
                                        ; -- End function
	.set _ZN9rocsolver6v33100L17larf_right_kernelILi1024EdlPKPdEEvT1_S5_T2_lS5_lPKT0_lS6_lS5_l.num_vgpr, 26
	.set _ZN9rocsolver6v33100L17larf_right_kernelILi1024EdlPKPdEEvT1_S5_T2_lS5_lPKT0_lS6_lS5_l.num_agpr, 0
	.set _ZN9rocsolver6v33100L17larf_right_kernelILi1024EdlPKPdEEvT1_S5_T2_lS5_lPKT0_lS6_lS5_l.numbered_sgpr, 28
	.set _ZN9rocsolver6v33100L17larf_right_kernelILi1024EdlPKPdEEvT1_S5_T2_lS5_lPKT0_lS6_lS5_l.num_named_barrier, 0
	.set _ZN9rocsolver6v33100L17larf_right_kernelILi1024EdlPKPdEEvT1_S5_T2_lS5_lPKT0_lS6_lS5_l.private_seg_size, 0
	.set _ZN9rocsolver6v33100L17larf_right_kernelILi1024EdlPKPdEEvT1_S5_T2_lS5_lPKT0_lS6_lS5_l.uses_vcc, 1
	.set _ZN9rocsolver6v33100L17larf_right_kernelILi1024EdlPKPdEEvT1_S5_T2_lS5_lPKT0_lS6_lS5_l.uses_flat_scratch, 0
	.set _ZN9rocsolver6v33100L17larf_right_kernelILi1024EdlPKPdEEvT1_S5_T2_lS5_lPKT0_lS6_lS5_l.has_dyn_sized_stack, 0
	.set _ZN9rocsolver6v33100L17larf_right_kernelILi1024EdlPKPdEEvT1_S5_T2_lS5_lPKT0_lS6_lS5_l.has_recursion, 0
	.set _ZN9rocsolver6v33100L17larf_right_kernelILi1024EdlPKPdEEvT1_S5_T2_lS5_lPKT0_lS6_lS5_l.has_indirect_call, 0
	.section	.AMDGPU.csdata,"",@progbits
; Kernel info:
; codeLenInByte = 1320
; TotalNumSgprs: 34
; NumVgprs: 26
; NumAgprs: 0
; TotalNumVgprs: 26
; ScratchSize: 0
; MemoryBound: 0
; FloatMode: 240
; IeeeMode: 1
; LDSByteSize: 0 bytes/workgroup (compile time only)
; SGPRBlocks: 4
; VGPRBlocks: 3
; NumSGPRsForWavesPerEU: 34
; NumVGPRsForWavesPerEU: 26
; AccumOffset: 28
; Occupancy: 8
; WaveLimiterHint : 0
; COMPUTE_PGM_RSRC2:SCRATCH_EN: 0
; COMPUTE_PGM_RSRC2:USER_SGPR: 2
; COMPUTE_PGM_RSRC2:TRAP_HANDLER: 0
; COMPUTE_PGM_RSRC2:TGID_X_EN: 1
; COMPUTE_PGM_RSRC2:TGID_Y_EN: 1
; COMPUTE_PGM_RSRC2:TGID_Z_EN: 1
; COMPUTE_PGM_RSRC2:TIDIG_COMP_CNT: 0
; COMPUTE_PGM_RSRC3_GFX90A:ACCUM_OFFSET: 6
; COMPUTE_PGM_RSRC3_GFX90A:TG_SPLIT: 0
	.section	.text._ZN9rocsolver6v33100L9get_arrayIdlEEvPPT_S3_lT0_,"axG",@progbits,_ZN9rocsolver6v33100L9get_arrayIdlEEvPPT_S3_lT0_,comdat
	.globl	_ZN9rocsolver6v33100L9get_arrayIdlEEvPPT_S3_lT0_ ; -- Begin function _ZN9rocsolver6v33100L9get_arrayIdlEEvPPT_S3_lT0_
	.p2align	8
	.type	_ZN9rocsolver6v33100L9get_arrayIdlEEvPPT_S3_lT0_,@function
_ZN9rocsolver6v33100L9get_arrayIdlEEvPPT_S3_lT0_: ; @_ZN9rocsolver6v33100L9get_arrayIdlEEvPPT_S3_lT0_
; %bb.0:
	s_load_dword s3, s[0:1], 0x2c
	s_load_dwordx8 s[4:11], s[0:1], 0x0
	v_mov_b32_e32 v1, 0
	v_mov_b32_e32 v2, s2
	s_waitcnt lgkmcnt(0)
	s_and_b32 s0, s3, 0xffff
	v_mad_u64_u32 v[0:1], s[0:1], s0, v2, v[0:1]
	v_cmp_gt_i64_e32 vcc, s[10:11], v[0:1]
	s_and_saveexec_b64 s[0:1], vcc
	s_cbranch_execz .LBB54_2
; %bb.1:
	v_mul_lo_u32 v8, v1, s8
	v_mul_lo_u32 v9, v0, s9
	v_mad_u64_u32 v[6:7], s[0:1], v0, s8, 0
	v_mov_b32_e32 v2, s4
	v_mov_b32_e32 v3, s5
	;; [unrolled: 1-line block ×4, first 2 shown]
	v_add3_u32 v7, v7, v9, v8
	v_lshl_add_u64 v[4:5], v[6:7], 3, v[4:5]
	v_lshl_add_u64 v[0:1], v[0:1], 3, v[2:3]
	global_store_dwordx2 v[0:1], v[4:5], off
.LBB54_2:
	s_endpgm
	.section	.rodata,"a",@progbits
	.p2align	6, 0x0
	.amdhsa_kernel _ZN9rocsolver6v33100L9get_arrayIdlEEvPPT_S3_lT0_
		.amdhsa_group_segment_fixed_size 0
		.amdhsa_private_segment_fixed_size 0
		.amdhsa_kernarg_size 288
		.amdhsa_user_sgpr_count 2
		.amdhsa_user_sgpr_dispatch_ptr 0
		.amdhsa_user_sgpr_queue_ptr 0
		.amdhsa_user_sgpr_kernarg_segment_ptr 1
		.amdhsa_user_sgpr_dispatch_id 0
		.amdhsa_user_sgpr_kernarg_preload_length 0
		.amdhsa_user_sgpr_kernarg_preload_offset 0
		.amdhsa_user_sgpr_private_segment_size 0
		.amdhsa_uses_dynamic_stack 0
		.amdhsa_enable_private_segment 0
		.amdhsa_system_sgpr_workgroup_id_x 1
		.amdhsa_system_sgpr_workgroup_id_y 0
		.amdhsa_system_sgpr_workgroup_id_z 0
		.amdhsa_system_sgpr_workgroup_info 0
		.amdhsa_system_vgpr_workitem_id 0
		.amdhsa_next_free_vgpr 10
		.amdhsa_next_free_sgpr 12
		.amdhsa_accum_offset 12
		.amdhsa_reserve_vcc 1
		.amdhsa_float_round_mode_32 0
		.amdhsa_float_round_mode_16_64 0
		.amdhsa_float_denorm_mode_32 3
		.amdhsa_float_denorm_mode_16_64 3
		.amdhsa_dx10_clamp 1
		.amdhsa_ieee_mode 1
		.amdhsa_fp16_overflow 0
		.amdhsa_tg_split 0
		.amdhsa_exception_fp_ieee_invalid_op 0
		.amdhsa_exception_fp_denorm_src 0
		.amdhsa_exception_fp_ieee_div_zero 0
		.amdhsa_exception_fp_ieee_overflow 0
		.amdhsa_exception_fp_ieee_underflow 0
		.amdhsa_exception_fp_ieee_inexact 0
		.amdhsa_exception_int_div_zero 0
	.end_amdhsa_kernel
	.section	.text._ZN9rocsolver6v33100L9get_arrayIdlEEvPPT_S3_lT0_,"axG",@progbits,_ZN9rocsolver6v33100L9get_arrayIdlEEvPPT_S3_lT0_,comdat
.Lfunc_end54:
	.size	_ZN9rocsolver6v33100L9get_arrayIdlEEvPPT_S3_lT0_, .Lfunc_end54-_ZN9rocsolver6v33100L9get_arrayIdlEEvPPT_S3_lT0_
                                        ; -- End function
	.set _ZN9rocsolver6v33100L9get_arrayIdlEEvPPT_S3_lT0_.num_vgpr, 10
	.set _ZN9rocsolver6v33100L9get_arrayIdlEEvPPT_S3_lT0_.num_agpr, 0
	.set _ZN9rocsolver6v33100L9get_arrayIdlEEvPPT_S3_lT0_.numbered_sgpr, 12
	.set _ZN9rocsolver6v33100L9get_arrayIdlEEvPPT_S3_lT0_.num_named_barrier, 0
	.set _ZN9rocsolver6v33100L9get_arrayIdlEEvPPT_S3_lT0_.private_seg_size, 0
	.set _ZN9rocsolver6v33100L9get_arrayIdlEEvPPT_S3_lT0_.uses_vcc, 1
	.set _ZN9rocsolver6v33100L9get_arrayIdlEEvPPT_S3_lT0_.uses_flat_scratch, 0
	.set _ZN9rocsolver6v33100L9get_arrayIdlEEvPPT_S3_lT0_.has_dyn_sized_stack, 0
	.set _ZN9rocsolver6v33100L9get_arrayIdlEEvPPT_S3_lT0_.has_recursion, 0
	.set _ZN9rocsolver6v33100L9get_arrayIdlEEvPPT_S3_lT0_.has_indirect_call, 0
	.section	.AMDGPU.csdata,"",@progbits
; Kernel info:
; codeLenInByte = 132
; TotalNumSgprs: 18
; NumVgprs: 10
; NumAgprs: 0
; TotalNumVgprs: 10
; ScratchSize: 0
; MemoryBound: 0
; FloatMode: 240
; IeeeMode: 1
; LDSByteSize: 0 bytes/workgroup (compile time only)
; SGPRBlocks: 2
; VGPRBlocks: 1
; NumSGPRsForWavesPerEU: 18
; NumVGPRsForWavesPerEU: 10
; AccumOffset: 12
; Occupancy: 8
; WaveLimiterHint : 0
; COMPUTE_PGM_RSRC2:SCRATCH_EN: 0
; COMPUTE_PGM_RSRC2:USER_SGPR: 2
; COMPUTE_PGM_RSRC2:TRAP_HANDLER: 0
; COMPUTE_PGM_RSRC2:TGID_X_EN: 1
; COMPUTE_PGM_RSRC2:TGID_Y_EN: 0
; COMPUTE_PGM_RSRC2:TGID_Z_EN: 0
; COMPUTE_PGM_RSRC2:TIDIG_COMP_CNT: 0
; COMPUTE_PGM_RSRC3_GFX90A:ACCUM_OFFSET: 2
; COMPUTE_PGM_RSRC3_GFX90A:TG_SPLIT: 0
	.section	.text._ZN9rocsolver6v33100L12restore_diagIdldPKPdEEvPT1_llT2_lT0_lS8_,"axG",@progbits,_ZN9rocsolver6v33100L12restore_diagIdldPKPdEEvPT1_llT2_lT0_lS8_,comdat
	.globl	_ZN9rocsolver6v33100L12restore_diagIdldPKPdEEvPT1_llT2_lT0_lS8_ ; -- Begin function _ZN9rocsolver6v33100L12restore_diagIdldPKPdEEvPT1_llT2_lT0_lS8_
	.p2align	8
	.type	_ZN9rocsolver6v33100L12restore_diagIdldPKPdEEvPT1_llT2_lT0_lS8_,@function
_ZN9rocsolver6v33100L12restore_diagIdldPKPdEEvPT1_llT2_lT0_lS8_: ; @_ZN9rocsolver6v33100L12restore_diagIdldPKPdEEvPT1_llT2_lT0_lS8_
; %bb.0:
	s_load_dword s6, s[0:1], 0x4c
	s_load_dwordx2 s[4:5], s[0:1], 0x38
	v_bfe_u32 v0, v0, 10, 10
	v_mov_b32_e32 v1, 0
	s_waitcnt lgkmcnt(0)
	s_lshr_b32 s6, s6, 16
	s_mul_i32 s3, s3, s6
	v_add_u32_e32 v0, s3, v0
	v_cmp_gt_i64_e32 vcc, s[4:5], v[0:1]
	s_and_saveexec_b64 s[4:5], vcc
	s_cbranch_execz .LBB55_2
; %bb.1:
	s_load_dwordx8 s[8:15], s[0:1], 0x0
	s_load_dwordx4 s[4:7], s[0:1], 0x20
	s_mov_b32 s3, 0
	s_lshl_b64 s[0:1], s[2:3], 3
	s_waitcnt lgkmcnt(0)
	s_add_u32 s0, s14, s0
	s_addc_u32 s1, s15, s1
	s_load_dwordx2 s[0:1], s[0:1], 0x0
	s_lshl_b64 s[4:5], s[4:5], 3
	s_mul_i32 s3, s13, s2
	s_mul_hi_u32 s13, s12, s2
	s_mul_i32 s2, s12, s2
	s_waitcnt lgkmcnt(0)
	s_add_u32 s0, s0, s4
	s_addc_u32 s1, s1, s5
	s_add_i32 s3, s13, s3
	s_lshl_b64 s[2:3], s[2:3], 3
	s_add_u32 s4, s8, s2
	s_addc_u32 s5, s9, s3
	s_lshl_b64 s[2:3], s[10:11], 3
	s_add_u32 s2, s4, s2
	s_addc_u32 s3, s5, s3
	v_lshl_add_u64 v[2:3], v[0:1], 3, s[2:3]
	global_load_dwordx2 v[2:3], v[2:3], off
	v_mad_u64_u32 v[4:5], s[2:3], v0, s6, v[0:1]
	v_mov_b32_e32 v6, v5
	v_mad_u64_u32 v[0:1], s[2:3], v0, s7, v[6:7]
	v_mov_b32_e32 v5, v0
	v_lshl_add_u64 v[0:1], v[4:5], 3, s[0:1]
	s_waitcnt vmcnt(0)
	flat_store_dwordx2 v[0:1], v[2:3]
.LBB55_2:
	s_endpgm
	.section	.rodata,"a",@progbits
	.p2align	6, 0x0
	.amdhsa_kernel _ZN9rocsolver6v33100L12restore_diagIdldPKPdEEvPT1_llT2_lT0_lS8_
		.amdhsa_group_segment_fixed_size 0
		.amdhsa_private_segment_fixed_size 0
		.amdhsa_kernarg_size 320
		.amdhsa_user_sgpr_count 2
		.amdhsa_user_sgpr_dispatch_ptr 0
		.amdhsa_user_sgpr_queue_ptr 0
		.amdhsa_user_sgpr_kernarg_segment_ptr 1
		.amdhsa_user_sgpr_dispatch_id 0
		.amdhsa_user_sgpr_kernarg_preload_length 0
		.amdhsa_user_sgpr_kernarg_preload_offset 0
		.amdhsa_user_sgpr_private_segment_size 0
		.amdhsa_uses_dynamic_stack 0
		.amdhsa_enable_private_segment 0
		.amdhsa_system_sgpr_workgroup_id_x 1
		.amdhsa_system_sgpr_workgroup_id_y 1
		.amdhsa_system_sgpr_workgroup_id_z 0
		.amdhsa_system_sgpr_workgroup_info 0
		.amdhsa_system_vgpr_workitem_id 1
		.amdhsa_next_free_vgpr 8
		.amdhsa_next_free_sgpr 16
		.amdhsa_accum_offset 8
		.amdhsa_reserve_vcc 1
		.amdhsa_float_round_mode_32 0
		.amdhsa_float_round_mode_16_64 0
		.amdhsa_float_denorm_mode_32 3
		.amdhsa_float_denorm_mode_16_64 3
		.amdhsa_dx10_clamp 1
		.amdhsa_ieee_mode 1
		.amdhsa_fp16_overflow 0
		.amdhsa_tg_split 0
		.amdhsa_exception_fp_ieee_invalid_op 0
		.amdhsa_exception_fp_denorm_src 0
		.amdhsa_exception_fp_ieee_div_zero 0
		.amdhsa_exception_fp_ieee_overflow 0
		.amdhsa_exception_fp_ieee_underflow 0
		.amdhsa_exception_fp_ieee_inexact 0
		.amdhsa_exception_int_div_zero 0
	.end_amdhsa_kernel
	.section	.text._ZN9rocsolver6v33100L12restore_diagIdldPKPdEEvPT1_llT2_lT0_lS8_,"axG",@progbits,_ZN9rocsolver6v33100L12restore_diagIdldPKPdEEvPT1_llT2_lT0_lS8_,comdat
.Lfunc_end55:
	.size	_ZN9rocsolver6v33100L12restore_diagIdldPKPdEEvPT1_llT2_lT0_lS8_, .Lfunc_end55-_ZN9rocsolver6v33100L12restore_diagIdldPKPdEEvPT1_llT2_lT0_lS8_
                                        ; -- End function
	.set _ZN9rocsolver6v33100L12restore_diagIdldPKPdEEvPT1_llT2_lT0_lS8_.num_vgpr, 8
	.set _ZN9rocsolver6v33100L12restore_diagIdldPKPdEEvPT1_llT2_lT0_lS8_.num_agpr, 0
	.set _ZN9rocsolver6v33100L12restore_diagIdldPKPdEEvPT1_llT2_lT0_lS8_.numbered_sgpr, 16
	.set _ZN9rocsolver6v33100L12restore_diagIdldPKPdEEvPT1_llT2_lT0_lS8_.num_named_barrier, 0
	.set _ZN9rocsolver6v33100L12restore_diagIdldPKPdEEvPT1_llT2_lT0_lS8_.private_seg_size, 0
	.set _ZN9rocsolver6v33100L12restore_diagIdldPKPdEEvPT1_llT2_lT0_lS8_.uses_vcc, 1
	.set _ZN9rocsolver6v33100L12restore_diagIdldPKPdEEvPT1_llT2_lT0_lS8_.uses_flat_scratch, 0
	.set _ZN9rocsolver6v33100L12restore_diagIdldPKPdEEvPT1_llT2_lT0_lS8_.has_dyn_sized_stack, 0
	.set _ZN9rocsolver6v33100L12restore_diagIdldPKPdEEvPT1_llT2_lT0_lS8_.has_recursion, 0
	.set _ZN9rocsolver6v33100L12restore_diagIdldPKPdEEvPT1_llT2_lT0_lS8_.has_indirect_call, 0
	.section	.AMDGPU.csdata,"",@progbits
; Kernel info:
; codeLenInByte = 220
; TotalNumSgprs: 22
; NumVgprs: 8
; NumAgprs: 0
; TotalNumVgprs: 8
; ScratchSize: 0
; MemoryBound: 0
; FloatMode: 240
; IeeeMode: 1
; LDSByteSize: 0 bytes/workgroup (compile time only)
; SGPRBlocks: 2
; VGPRBlocks: 0
; NumSGPRsForWavesPerEU: 22
; NumVGPRsForWavesPerEU: 8
; AccumOffset: 8
; Occupancy: 8
; WaveLimiterHint : 1
; COMPUTE_PGM_RSRC2:SCRATCH_EN: 0
; COMPUTE_PGM_RSRC2:USER_SGPR: 2
; COMPUTE_PGM_RSRC2:TRAP_HANDLER: 0
; COMPUTE_PGM_RSRC2:TGID_X_EN: 1
; COMPUTE_PGM_RSRC2:TGID_Y_EN: 1
; COMPUTE_PGM_RSRC2:TGID_Z_EN: 0
; COMPUTE_PGM_RSRC2:TIDIG_COMP_CNT: 1
; COMPUTE_PGM_RSRC3_GFX90A:ACCUM_OFFSET: 1
; COMPUTE_PGM_RSRC3_GFX90A:TG_SPLIT: 0
	.section	.text._ZN9rocsolver6v33100L18geqr2_kernel_smallILi256E19rocblas_complex_numIfElfPKPS3_EEvT1_S7_T3_lS7_lPT2_lPT0_l,"axG",@progbits,_ZN9rocsolver6v33100L18geqr2_kernel_smallILi256E19rocblas_complex_numIfElfPKPS3_EEvT1_S7_T3_lS7_lPT2_lPT0_l,comdat
	.globl	_ZN9rocsolver6v33100L18geqr2_kernel_smallILi256E19rocblas_complex_numIfElfPKPS3_EEvT1_S7_T3_lS7_lPT2_lPT0_l ; -- Begin function _ZN9rocsolver6v33100L18geqr2_kernel_smallILi256E19rocblas_complex_numIfElfPKPS3_EEvT1_S7_T3_lS7_lPT2_lPT0_l
	.p2align	8
	.type	_ZN9rocsolver6v33100L18geqr2_kernel_smallILi256E19rocblas_complex_numIfElfPKPS3_EEvT1_S7_T3_lS7_lPT2_lPT0_l,@function
_ZN9rocsolver6v33100L18geqr2_kernel_smallILi256E19rocblas_complex_numIfElfPKPS3_EEvT1_S7_T3_lS7_lPT2_lPT0_l: ; @_ZN9rocsolver6v33100L18geqr2_kernel_smallILi256E19rocblas_complex_numIfElfPKPS3_EEvT1_S7_T3_lS7_lPT2_lPT0_l
; %bb.0:
	s_load_dwordx8 s[12:19], s[0:1], 0x0
	s_load_dwordx2 s[10:11], s[0:1], 0x20
	s_mov_b32 s4, s3
	s_mov_b32 s5, 0
	s_lshl_b64 s[2:3], s[4:5], 3
	s_waitcnt lgkmcnt(0)
	s_add_u32 s2, s16, s2
	s_addc_u32 s3, s17, s3
	s_load_dwordx2 s[16:17], s[2:3], 0x0
	v_mov_b32_e32 v1, 0
	v_and_b32_e32 v2, 0x7f, v0
	v_mov_b32_e32 v3, v1
	v_cmp_gt_i64_e64 s[8:9], s[12:13], v[2:3]
	v_lshrrev_b32_e32 v4, 7, v0
	v_lshlrev_b32_e32 v6, 3, v2
	s_and_saveexec_b64 s[6:7], s[8:9]
	s_cbranch_execz .LBB56_6
; %bb.1:
	v_and_b32_e32 v7, 0x7f, v0
	v_mul_lo_u32 v8, s12, v4
	v_lshlrev_b32_e32 v7, 3, v7
	v_lshlrev_b32_e32 v8, 3, v8
	v_add3_u32 v16, v7, v8, 0
	v_mul_lo_u32 v9, s11, v4
	v_mul_lo_u32 v8, s10, v4
	s_lshl_b64 s[2:3], s[18:19], 3
	v_lshl_add_u64 v[8:9], v[8:9], 3, s[2:3]
	v_mov_b32_e32 v7, v1
	v_mov_b32_e32 v5, v1
	v_lshl_add_u64 v[8:9], v[8:9], 0, v[6:7]
	v_cmp_gt_i64_e32 vcc, s[14:15], v[4:5]
	s_lshl_b32 s5, s12, 4
	s_waitcnt lgkmcnt(0)
	v_lshl_add_u64 v[8:9], s[16:17], 0, v[8:9]
	s_lshl_b64 s[20:21], s[10:11], 4
	s_mov_b64 s[22:23], 0
	s_mov_b64 s[24:25], 0x80
	;; [unrolled: 1-line block ×3, first 2 shown]
	v_mov_b64_e32 v[10:11], v[2:3]
	s_branch .LBB56_3
.LBB56_2:                               ;   in Loop: Header=BB56_3 Depth=1
	s_or_b64 exec, exec, s[28:29]
	v_lshl_add_u64 v[10:11], v[10:11], 0, s[24:25]
	v_cmp_le_i64_e64 s[2:3], s[12:13], v[10:11]
	v_add_u32_e32 v16, 0x400, v16
	s_or_b64 s[22:23], s[2:3], s[22:23]
	v_lshl_add_u64 v[8:9], v[8:9], 0, s[26:27]
	s_andn2_b64 exec, exec, s[22:23]
	s_cbranch_execz .LBB56_6
.LBB56_3:                               ; =>This Loop Header: Depth=1
                                        ;     Child Loop BB56_5 Depth 2
	s_and_saveexec_b64 s[28:29], vcc
	s_cbranch_execz .LBB56_2
; %bb.4:                                ;   in Loop: Header=BB56_3 Depth=1
	s_mov_b64 s[30:31], 0
	v_mov_b64_e32 v[12:13], v[8:9]
	v_mov_b32_e32 v7, v16
	v_mov_b64_e32 v[14:15], v[4:5]
.LBB56_5:                               ;   Parent Loop BB56_3 Depth=1
                                        ; =>  This Inner Loop Header: Depth=2
	flat_load_dwordx2 v[18:19], v[12:13]
	v_lshl_add_u64 v[14:15], v[14:15], 0, 2
	v_cmp_le_i64_e64 s[2:3], s[14:15], v[14:15]
	v_lshl_add_u64 v[12:13], v[12:13], 0, s[20:21]
	s_or_b64 s[30:31], s[2:3], s[30:31]
	s_waitcnt vmcnt(0) lgkmcnt(0)
	ds_write_b64 v7, v[18:19]
	v_add_u32_e32 v7, s5, v7
	s_andn2_b64 exec, exec, s[30:31]
	s_cbranch_execnz .LBB56_5
	s_branch .LBB56_2
.LBB56_6:
	s_or_b64 exec, exec, s[6:7]
	v_mov_b64_e32 v[8:9], s[12:13]
	v_cmp_lt_i64_e32 vcc, s[14:15], v[8:9]
	s_and_b64 s[2:3], vcc, exec
	s_cselect_b32 s29, s15, s13
	s_cselect_b32 s28, s14, s12
	v_cmp_lt_i64_e64 s[2:3], s[28:29], 1
	s_and_b64 vcc, exec, s[2:3]
	s_waitcnt lgkmcnt(0)
	s_barrier
	s_cbranch_vccnz .LBB56_45
; %bb.7:
	s_load_dwordx8 s[20:27], s[0:1], 0x30
	v_mbcnt_lo_u32_b32 v5, -1, 0
	v_mbcnt_hi_u32_b32 v8, -1, v5
	v_and_b32_e32 v9, 63, v8
	v_cmp_ne_u32_e32 vcc, 63, v9
	s_waitcnt lgkmcnt(0)
	s_mul_i32 s1, s23, s4
	s_mul_hi_u32 s2, s22, s4
	s_mul_i32 s0, s22, s4
	s_add_i32 s1, s2, s1
	s_lshl_b64 s[0:1], s[0:1], 2
	s_mul_i32 s3, s27, s4
	s_mul_hi_u32 s5, s26, s4
	s_add_u32 s33, s20, s0
	v_addc_co_u32_e32 v5, vcc, 0, v8, vcc
	s_addc_u32 s42, s21, s1
	s_add_i32 s1, s5, s3
	s_mul_i32 s0, s26, s4
	v_cmp_gt_u32_e32 vcc, 62, v9
	s_lshl_b64 s[0:1], s[0:1], 3
	s_add_u32 s43, s24, s0
	v_cndmask_b32_e64 v7, 0, 2, vcc
	v_cmp_gt_u32_e32 vcc, 60, v9
	s_mul_i32 s0, s14, s12
	s_addc_u32 s44, s25, s1
	v_cndmask_b32_e64 v10, 0, 4, vcc
	v_cmp_gt_u32_e32 vcc, 56, v9
	s_lshl_b32 s0, s0, 3
	v_add_lshl_u32 v14, v10, v8, 2
	v_cndmask_b32_e64 v10, 0, 8, vcc
	v_cmp_gt_u32_e32 vcc, 48, v9
	s_add_i32 s46, s0, 0
	s_lshl_b32 s0, s14, 3
	v_cndmask_b32_e64 v9, 0, 16, vcc
	s_add_i32 s47, s46, s0
	v_add_lshl_u32 v16, v9, v8, 2
	v_mov_b32_e32 v9, 0x80
	v_add_lshl_u32 v7, v7, v8, 2
	v_add_lshl_u32 v15, v10, v8, 2
	v_lshl_or_b32 v17, v8, 2, v9
	v_and_b32_e32 v8, 63, v0
	s_cmp_lg_u64 s[20:21], 0
	v_cmp_eq_u32_e64 s[2:3], 0, v8
	s_cselect_b64 s[20:21], -1, 0
	s_lshl_b32 s48, s12, 3
	v_mul_lo_u32 v8, s12, v0
	v_lshrrev_b32_e32 v9, 3, v0
	v_lshlrev_b32_e32 v10, 3, v0
	v_add_u32_e32 v11, s12, v8
	v_mov_b32_e32 v8, 0
	s_add_i32 s0, s48, 0
	s_mov_b32 s45, 0
	v_lshlrev_b32_e32 v5, 2, v5
	v_cmp_eq_u32_e64 s[4:5], 0, v0
	s_mov_b64 s[22:23], 0
	v_add3_u32 v18, v10, 0, 8
	s_add_i32 s49, s48, 8
	v_lshl_add_u32 v19, v11, 3, 0
	s_lshl_b32 s50, s12, 11
	v_add_u32_e32 v20, s0, v10
	s_mov_b64 s[24:25], 0x100
	v_add_u32_e32 v21, s47, v9
	v_mov_b32_e32 v9, v8
	v_mov_b32_e32 v22, 1.0
	s_mov_b32 s51, 0xf800000
	v_mov_b32_e32 v23, 0x260
	s_branch .LBB56_9
.LBB56_8:                               ;   in Loop: Header=BB56_9 Depth=1
	s_or_b64 exec, exec, s[6:7]
	s_add_u32 s22, s22, 1
	s_addc_u32 s23, s23, 0
	v_mov_b64_e32 v[10:11], s[22:23]
	v_cmp_le_i64_e32 vcc, s[28:29], v[10:11]
	v_add_u32_e32 v18, s49, v18
	s_add_i32 s45, s45, s49
	v_add_u32_e32 v19, s49, v19
	v_add_u32_e32 v20, s49, v20
	s_waitcnt lgkmcnt(0)
	s_barrier
	s_cbranch_vccnz .LBB56_45
.LBB56_9:                               ; =>This Loop Header: Depth=1
                                        ;     Child Loop BB56_11 Depth 2
                                        ;     Child Loop BB56_30 Depth 2
	;; [unrolled: 1-line block ×3, first 2 shown]
                                        ;       Child Loop BB56_37 Depth 3
                                        ;     Child Loop BB56_41 Depth 2
                                        ;       Child Loop BB56_43 Depth 3
	s_sub_u32 s26, s12, s22
	s_subb_u32 s27, s13, s23
	s_add_u32 s30, s26, -1
	s_addc_u32 s31, s27, -1
	v_cmp_gt_i64_e64 s[6:7], s[30:31], v[0:1]
	v_mov_b32_e32 v12, 0
	v_mov_b32_e32 v13, 0
	s_and_saveexec_b64 s[0:1], s[6:7]
	s_cbranch_execz .LBB56_13
; %bb.10:                               ;   in Loop: Header=BB56_9 Depth=1
	v_mov_b32_e32 v12, 0
	s_mov_b64 s[34:35], 0
	v_mov_b32_e32 v24, v18
	v_mov_b64_e32 v[10:11], v[0:1]
	v_mov_b32_e32 v13, 0
.LBB56_11:                              ;   Parent Loop BB56_9 Depth=1
                                        ; =>  This Inner Loop Header: Depth=2
	ds_read_b64 v[26:27], v24
	v_lshl_add_u64 v[10:11], v[10:11], 0, s[24:25]
	v_cmp_le_i64_e32 vcc, s[30:31], v[10:11]
	v_add_u32_e32 v24, 0x800, v24
	s_or_b64 s[34:35], vcc, s[34:35]
	s_waitcnt lgkmcnt(0)
	v_mul_f32_e32 v25, v27, v27
	v_mul_f32_e32 v28, v27, v26
	v_fmac_f32_e32 v25, v26, v26
	v_fma_f32 v26, v26, v27, -v28
	v_add_f32_e32 v13, v13, v25
	v_add_f32_e32 v12, v12, v26
	s_andn2_b64 exec, exec, s[34:35]
	s_cbranch_execnz .LBB56_11
; %bb.12:                               ;   in Loop: Header=BB56_9 Depth=1
	s_or_b64 exec, exec, s[34:35]
.LBB56_13:                              ;   in Loop: Header=BB56_9 Depth=1
	s_or_b64 exec, exec, s[0:1]
	ds_bpermute_b32 v10, v5, v13
	ds_bpermute_b32 v11, v5, v12
	s_waitcnt lgkmcnt(1)
	v_add_f32_e32 v10, v13, v10
	s_waitcnt lgkmcnt(0)
	v_add_f32_e32 v11, v12, v11
	ds_bpermute_b32 v12, v7, v10
	ds_bpermute_b32 v13, v7, v11
	s_waitcnt lgkmcnt(1)
	v_add_f32_e32 v10, v10, v12
	s_waitcnt lgkmcnt(0)
	v_add_f32_e32 v11, v11, v13
	;; [unrolled: 6-line block ×5, first 2 shown]
	ds_bpermute_b32 v13, v17, v10
	ds_bpermute_b32 v12, v17, v11
	s_waitcnt lgkmcnt(1)
	v_add_f32_e32 v10, v10, v13
	s_and_saveexec_b64 s[0:1], s[2:3]
	s_cbranch_execz .LBB56_15
; %bb.14:                               ;   in Loop: Header=BB56_9 Depth=1
	s_waitcnt lgkmcnt(0)
	v_add_f32_e32 v11, v11, v12
	ds_write2_b32 v21, v10, v11 offset0:2 offset1:3
.LBB56_15:                              ;   in Loop: Header=BB56_9 Depth=1
	s_or_b64 exec, exec, s[0:1]
	s_lshl_b32 s0, s22, 3
	s_add_i32 s52, s0, 0
	s_mul_i32 s0, s22, s12
	s_lshl_b32 s0, s0, 3
	s_add_i32 s52, s52, s0
	s_waitcnt lgkmcnt(0)
	s_barrier
	s_and_saveexec_b64 s[34:35], s[4:5]
	s_cbranch_execz .LBB56_28
; %bb.16:                               ;   in Loop: Header=BB56_9 Depth=1
	v_mov_b32_e32 v11, s47
	ds_read2_b32 v[24:25], v11 offset0:4 offset1:6
	v_mov_b32_e32 v12, s52
	ds_read_b32 v11, v11 offset:32
	ds_read_b32 v12, v12 offset:4
	s_lshl_b64 s[0:1], s[22:23], 2
	s_waitcnt lgkmcnt(2)
	v_add_f32_e32 v10, v10, v24
	v_add_f32_e32 v10, v10, v25
	s_waitcnt lgkmcnt(1)
	v_add_f32_e32 v13, v10, v11
	s_waitcnt lgkmcnt(0)
	v_mul_f32_e32 v25, v12, v12
	s_add_u32 s38, s33, s0
	v_max_f32_e32 v10, v13, v25
	s_addc_u32 s39, s42, s1
	v_cmp_nlt_f32_e32 vcc, 0, v10
	s_mov_b64 s[36:37], 0
	s_and_saveexec_b64 s[0:1], vcc
	s_xor_b64 s[0:1], exec, s[0:1]
	s_cbranch_execz .LBB56_20
; %bb.17:                               ;   in Loop: Header=BB56_9 Depth=1
	v_mov_b32_e32 v10, s47
	s_and_b64 vcc, exec, s[20:21]
	ds_write_b64 v10, v[8:9]
	s_cbranch_vccz .LBB56_19
; %bb.18:                               ;   in Loop: Header=BB56_9 Depth=1
	v_mov_b32_e32 v10, s52
	ds_read_b32 v11, v10
	s_mov_b64 s[36:37], -1
	ds_write_b32 v10, v22
	s_waitcnt lgkmcnt(1)
	global_store_dword v8, v11, s[38:39]
.LBB56_19:                              ;   in Loop: Header=BB56_9 Depth=1
	s_and_b64 s[36:37], s[36:37], exec
                                        ; implicit-def: $vgpr25
                                        ; implicit-def: $vgpr13
                                        ; implicit-def: $vgpr12
.LBB56_20:                              ;   in Loop: Header=BB56_9 Depth=1
	s_or_saveexec_b64 s[40:41], s[0:1]
	v_mov_b32_e32 v10, 1.0
	v_mov_b32_e32 v11, 0
	v_mov_b32_e32 v26, 0
	v_mov_b32_e32 v24, 1.0
	s_xor_b64 exec, exec, s[40:41]
	s_cbranch_execz .LBB56_25
; %bb.21:                               ;   in Loop: Header=BB56_9 Depth=1
	v_mov_b32_e32 v24, s52
	ds_read_b32 v26, v24
	s_waitcnt lgkmcnt(0)
	v_fma_f32 v24, v26, v26, v25
	v_add_f32_e32 v13, v13, v24
	v_mul_f32_e32 v24, 0x4f800000, v13
	v_cmp_gt_f32_e32 vcc, s51, v13
	s_nop 1
	v_cndmask_b32_e32 v13, v13, v24, vcc
	v_sqrt_f32_e32 v24, v13
	s_nop 0
	v_add_u32_e32 v27, -1, v24
	v_add_u32_e32 v28, 1, v24
	v_fma_f32 v29, -v27, v24, v13
	v_fma_f32 v30, -v28, v24, v13
	v_cmp_ge_f32_e64 s[0:1], 0, v29
	s_nop 1
	v_cndmask_b32_e64 v24, v24, v27, s[0:1]
	v_cmp_lt_f32_e64 s[0:1], 0, v30
	s_nop 1
	v_cndmask_b32_e64 v24, v24, v28, s[0:1]
	v_mul_f32_e32 v27, 0x37800000, v24
	v_cndmask_b32_e32 v24, v24, v27, vcc
	v_cmp_class_f32_e32 vcc, v13, v23
	s_nop 1
	v_cndmask_b32_e32 v13, v24, v13, vcc
	v_cmp_le_f32_e32 vcc, 0, v26
	s_nop 1
	v_cndmask_b32_e64 v13, v13, -v13, vcc
	v_sub_f32_e32 v24, v26, v13
	v_fmac_f32_e32 v25, v24, v24
	v_div_scale_f32 v27, s[0:1], v25, v25, v24
	v_rcp_f32_e32 v28, v27
	v_div_scale_f32 v29, vcc, v24, v25, v24
	v_fma_f32 v30, -v27, v28, 1.0
	v_fmac_f32_e32 v28, v30, v28
	v_mul_f32_e32 v30, v29, v28
	v_fma_f32 v31, -v27, v30, v29
	v_fmac_f32_e32 v30, v31, v28
	v_fma_f32 v27, -v27, v30, v29
	v_div_scale_f32 v29, s[0:1], v25, v25, -v12
	v_rcp_f32_e32 v31, v29
	v_div_fmas_f32 v27, v27, v28, v30
	v_div_fixup_f32 v24, v27, v25, v24
	v_fma_f32 v27, -v29, v31, 1.0
	v_fmac_f32_e32 v31, v27, v31
	v_div_scale_f32 v27, vcc, -v12, v25, -v12
	v_mul_f32_e32 v28, v27, v31
	v_fma_f32 v30, -v29, v28, v27
	v_fmac_f32_e32 v28, v30, v31
	v_fma_f32 v27, -v29, v28, v27
	v_sub_f32_e32 v29, v13, v26
	v_div_scale_f32 v30, s[0:1], v13, v13, v29
	v_rcp_f32_e32 v32, v30
	v_div_fmas_f32 v26, v27, v31, v28
	v_div_fixup_f32 v26, v26, v25, -v12
	v_fma_f32 v25, -v30, v32, 1.0
	v_fmac_f32_e32 v32, v25, v32
	v_div_scale_f32 v25, vcc, v29, v13, v29
	v_mul_f32_e32 v27, v25, v32
	v_fma_f32 v28, -v30, v27, v25
	v_fmac_f32_e32 v27, v28, v32
	v_fma_f32 v25, -v30, v27, v25
	v_div_scale_f32 v30, s[0:1], v13, v13, -v12
	v_rcp_f32_e32 v31, v30
	v_div_fmas_f32 v25, v25, v32, v27
	v_div_fixup_f32 v28, v25, v13, v29
	v_fma_f32 v25, -v30, v31, 1.0
	v_fmac_f32_e32 v31, v25, v31
	v_div_scale_f32 v25, vcc, -v12, v13, -v12
	v_mul_f32_e32 v27, v25, v31
	v_fma_f32 v29, -v30, v27, v25
	v_fmac_f32_e32 v27, v29, v31
	v_fma_f32 v25, -v30, v27, v25
	v_div_fmas_f32 v25, v25, v31, v27
	v_div_fixup_f32 v29, v25, v13, -v12
	v_mov_b32_e32 v12, s47
	s_and_b64 vcc, exec, s[20:21]
	ds_write_b64 v12, v[28:29]
	s_cbranch_vccz .LBB56_44
; %bb.22:                               ;   in Loop: Header=BB56_9 Depth=1
	v_mov_b32_e32 v12, s52
	global_store_dword v8, v13, s[38:39]
	ds_write_b32 v12, v22
	s_cbranch_execnz .LBB56_24
.LBB56_23:                              ;   in Loop: Header=BB56_9 Depth=1
	v_mov_b32_e32 v12, s52
	ds_write_b32 v12, v13
.LBB56_24:                              ;   in Loop: Header=BB56_9 Depth=1
	s_or_b64 s[36:37], s[36:37], exec
.LBB56_25:                              ;   in Loop: Header=BB56_9 Depth=1
	s_or_b64 exec, exec, s[40:41]
	v_mov_b64_e32 v[12:13], 0
	s_and_saveexec_b64 s[0:1], s[36:37]
	s_cbranch_execz .LBB56_27
; %bb.26:                               ;   in Loop: Header=BB56_9 Depth=1
	v_mov_b32_e32 v10, s52
	ds_write_b32 v10, v8 offset:4
	v_mov_b32_e32 v10, s47
	ds_read_b64 v[12:13], v10
	v_mov_b32_e32 v10, v24
	v_mov_b32_e32 v11, v26
.LBB56_27:                              ;   in Loop: Header=BB56_9 Depth=1
	s_or_b64 exec, exec, s[0:1]
	s_lshl_b64 s[0:1], s[22:23], 3
	s_add_u32 s0, s43, s0
	s_addc_u32 s1, s44, s1
	s_waitcnt lgkmcnt(0)
	global_store_dwordx2 v8, v[12:13], s[0:1]
	v_xor_b32_e32 v13, 0x80000000, v13
	v_mov_b32_e32 v24, s47
	ds_write2_b64 v24, v[12:13], v[10:11] offset1:1
.LBB56_28:                              ;   in Loop: Header=BB56_9 Depth=1
	s_or_b64 exec, exec, s[34:35]
	s_waitcnt lgkmcnt(0)
	s_barrier
	s_and_saveexec_b64 s[0:1], s[6:7]
	s_cbranch_execz .LBB56_31
; %bb.29:                               ;   in Loop: Header=BB56_9 Depth=1
	s_mov_b32 s34, 0
	s_mov_b64 s[6:7], 0
	v_mov_b64_e32 v[10:11], v[0:1]
.LBB56_30:                              ;   Parent Loop BB56_9 Depth=1
                                        ; =>  This Inner Loop Header: Depth=2
	v_add_u32_e32 v30, s34, v18
	v_mov_b32_e32 v24, s47
	ds_read_b64 v[12:13], v30
	ds_read_b64 v[24:25], v24 offset:8
	v_lshl_add_u64 v[10:11], v[10:11], 0, s[24:25]
	s_addk_i32 s34, 0x800
	v_cmp_le_i64_e32 vcc, s[30:31], v[10:11]
	s_or_b64 s[6:7], vcc, s[6:7]
	s_waitcnt lgkmcnt(0)
	v_pk_mul_f32 v[26:27], v[24:25], v[12:13] op_sel:[1,1] op_sel_hi:[0,1]
	v_pk_fma_f32 v[28:29], v[24:25], v[12:13], v[26:27] neg_lo:[0,0,1] neg_hi:[0,0,1]
	v_pk_fma_f32 v[12:13], v[24:25], v[12:13], v[26:27] op_sel_hi:[1,0,1]
	s_nop 0
	v_mov_b32_e32 v29, v13
	ds_write_b64 v30, v[28:29]
	s_andn2_b64 exec, exec, s[6:7]
	s_cbranch_execnz .LBB56_30
.LBB56_31:                              ;   in Loop: Header=BB56_9 Depth=1
	s_or_b64 exec, exec, s[0:1]
	s_not_b64 s[0:1], s[22:23]
	s_add_u32 s0, s14, s0
	s_addc_u32 s1, s15, s1
	v_cmp_gt_i64_e32 vcc, s[0:1], v[0:1]
	s_waitcnt lgkmcnt(0)
	s_barrier
	s_and_saveexec_b64 s[6:7], vcc
	s_cbranch_execz .LBB56_38
; %bb.32:                               ;   in Loop: Header=BB56_9 Depth=1
	s_mov_b64 s[30:31], 0
	v_cmp_gt_i64_e64 s[34:35], s[26:27], 0
	v_mov_b32_e32 v24, v19
	v_mov_b64_e32 v[10:11], v[0:1]
	s_branch .LBB56_35
.LBB56_33:                              ;   in Loop: Header=BB56_35 Depth=2
	v_mov_b32_e32 v13, 0
	v_mov_b32_e32 v12, v13
.LBB56_34:                              ;   in Loop: Header=BB56_35 Depth=2
	v_mov_b32_e32 v25, s47
	ds_read_b64 v[26:27], v25
	v_lshl_add_u32 v25, v10, 3, s46
	v_lshl_add_u64 v[10:11], v[10:11], 0, s[24:25]
	v_cmp_le_i64_e32 vcc, s[0:1], v[10:11]
	s_or_b64 s[30:31], vcc, s[30:31]
	s_waitcnt lgkmcnt(0)
	v_pk_mul_f32 v[28:29], v[12:13], v[26:27] op_sel:[1,1] op_sel_hi:[0,1]
	v_pk_fma_f32 v[30:31], v[12:13], v[26:27], v[28:29] neg_lo:[0,0,1] neg_hi:[0,0,1]
	v_pk_fma_f32 v[12:13], v[12:13], v[26:27], v[28:29] op_sel_hi:[1,0,1]
	v_add_u32_e32 v24, s50, v24
	v_mov_b32_e32 v31, v13
	ds_write_b64 v25, v[30:31]
	s_andn2_b64 exec, exec, s[30:31]
	s_cbranch_execz .LBB56_38
.LBB56_35:                              ;   Parent Loop BB56_9 Depth=1
                                        ; =>  This Loop Header: Depth=2
                                        ;       Child Loop BB56_37 Depth 3
	s_andn2_b64 vcc, exec, s[34:35]
	s_cbranch_vccnz .LBB56_33
; %bb.36:                               ;   in Loop: Header=BB56_35 Depth=2
	v_mov_b32_e32 v12, 0
	s_mov_b64 s[36:37], 0
	v_mov_b32_e32 v25, v24
	s_mov_b32 s38, s45
	v_mov_b32_e32 v13, v12
.LBB56_37:                              ;   Parent Loop BB56_9 Depth=1
                                        ;     Parent Loop BB56_35 Depth=2
                                        ; =>    This Inner Loop Header: Depth=3
	v_mov_b32_e32 v30, s38
	ds_read_b64 v[26:27], v25
	ds_read_b64 v[30:31], v30
	s_add_u32 s36, s36, 1
	v_mov_b64_e32 v[28:29], s[26:27]
	s_addc_u32 s37, s37, 0
	v_cmp_ge_i64_e32 vcc, s[36:37], v[28:29]
	s_waitcnt lgkmcnt(1)
	v_mov_b32_e32 v28, v27
	s_waitcnt lgkmcnt(0)
	v_pk_mul_f32 v[32:33], v[30:31], v[26:27] op_sel_hi:[1,0]
	v_add_u32_e32 v25, 8, v25
	v_pk_fma_f32 v[28:29], v[30:31], v[28:29], v[32:33] op_sel:[1,0,0] op_sel_hi:[0,1,1]
	v_pk_fma_f32 v[26:27], v[30:31], v[26:27], v[32:33] op_sel:[1,1,0] op_sel_hi:[0,1,1] neg_lo:[0,0,1] neg_hi:[0,0,1]
	v_mov_b32_e32 v29, v27
	s_add_i32 s38, s38, 8
	v_pk_add_f32 v[12:13], v[12:13], v[28:29]
	s_cbranch_vccz .LBB56_37
	s_branch .LBB56_34
.LBB56_38:                              ;   in Loop: Header=BB56_9 Depth=1
	s_or_b64 exec, exec, s[6:7]
	v_cmp_gt_i64_e32 vcc, s[26:27], v[0:1]
	s_waitcnt lgkmcnt(0)
	s_barrier
	s_and_saveexec_b64 s[6:7], vcc
	s_cbranch_execz .LBB56_8
; %bb.39:                               ;   in Loop: Header=BB56_9 Depth=1
	s_mov_b64 s[30:31], 0
	v_cmp_gt_i64_e64 s[34:35], s[0:1], 0
	v_mov_b32_e32 v12, v20
	v_mov_b64_e32 v[10:11], v[0:1]
	s_branch .LBB56_41
.LBB56_40:                              ;   in Loop: Header=BB56_41 Depth=2
	v_lshl_add_u64 v[10:11], v[10:11], 0, s[24:25]
	v_cmp_le_i64_e32 vcc, s[26:27], v[10:11]
	s_or_b64 s[30:31], vcc, s[30:31]
	v_add_u32_e32 v12, 0x800, v12
	s_andn2_b64 exec, exec, s[30:31]
	s_cbranch_execz .LBB56_8
.LBB56_41:                              ;   Parent Loop BB56_9 Depth=1
                                        ; =>  This Loop Header: Depth=2
                                        ;       Child Loop BB56_43 Depth 3
	s_andn2_b64 vcc, exec, s[34:35]
	s_cbranch_vccnz .LBB56_40
; %bb.42:                               ;   in Loop: Header=BB56_41 Depth=2
	v_lshl_add_u32 v13, v10, 3, s52
	s_mov_b64 s[36:37], 0
	s_mov_b32 s38, s46
	v_mov_b32_e32 v24, v12
.LBB56_43:                              ;   Parent Loop BB56_9 Depth=1
                                        ;     Parent Loop BB56_41 Depth=2
                                        ; =>    This Inner Loop Header: Depth=3
	v_mov_b32_e32 v25, s38
	ds_read_b64 v[26:27], v13
	ds_read_b64 v[28:29], v24
	;; [unrolled: 1-line block ×3, first 2 shown]
	s_add_u32 s36, s36, 1
	v_mov_b64_e32 v[30:31], s[0:1]
	s_addc_u32 s37, s37, 0
	v_cmp_ge_i64_e32 vcc, s[36:37], v[30:31]
	s_waitcnt lgkmcnt(0)
	v_pk_mul_f32 v[30:31], v[32:33], v[26:27] op_sel:[1,1] op_sel_hi:[0,1]
	v_pk_fma_f32 v[34:35], v[32:33], v[26:27], v[30:31] neg_lo:[0,0,1] neg_hi:[0,0,1]
	v_pk_fma_f32 v[26:27], v[32:33], v[26:27], v[30:31] op_sel_hi:[1,0,1]
	s_add_i32 s38, s38, 8
	v_mov_b32_e32 v35, v27
	v_pk_add_f32 v[26:27], v[28:29], v[34:35] neg_lo:[0,1] neg_hi:[0,1]
	ds_write_b64 v24, v[26:27]
	v_add_u32_e32 v24, s48, v24
	s_cbranch_vccz .LBB56_43
	s_branch .LBB56_40
.LBB56_44:                              ;   in Loop: Header=BB56_9 Depth=1
	s_branch .LBB56_23
.LBB56_45:
	s_and_saveexec_b64 s[0:1], s[8:9]
	s_cbranch_execz .LBB56_51
; %bb.46:
	v_mov_b32_e32 v5, 0
	v_mul_lo_u32 v9, s11, v4
	v_mul_lo_u32 v8, s10, v4
	s_lshl_b64 s[0:1], s[18:19], 3
	v_lshl_add_u64 v[8:9], v[8:9], 3, s[0:1]
	v_mov_b32_e32 v7, v5
	v_and_b32_e32 v0, 0x7f, v0
	v_mul_lo_u32 v1, s12, v4
	v_lshl_add_u64 v[6:7], v[8:9], 0, v[6:7]
	v_lshlrev_b32_e32 v0, 3, v0
	v_lshlrev_b32_e32 v1, 3, v1
	v_cmp_gt_i64_e32 vcc, s[14:15], v[4:5]
	v_lshl_add_u64 v[6:7], s[16:17], 0, v[6:7]
	s_lshl_b64 s[2:3], s[10:11], 4
	v_add3_u32 v10, v0, v1, 0
	s_lshl_b32 s18, s12, 4
	s_mov_b64 s[4:5], 0
	s_mov_b64 s[6:7], 0x80
	;; [unrolled: 1-line block ×3, first 2 shown]
	s_branch .LBB56_48
.LBB56_47:                              ;   in Loop: Header=BB56_48 Depth=1
	s_or_b64 exec, exec, s[10:11]
	v_lshl_add_u64 v[2:3], v[2:3], 0, s[6:7]
	v_cmp_le_i64_e64 s[0:1], s[12:13], v[2:3]
	v_lshl_add_u64 v[6:7], v[6:7], 0, s[8:9]
	s_or_b64 s[4:5], s[0:1], s[4:5]
	v_add_u32_e32 v10, 0x400, v10
	s_andn2_b64 exec, exec, s[4:5]
	s_cbranch_execz .LBB56_51
.LBB56_48:                              ; =>This Loop Header: Depth=1
                                        ;     Child Loop BB56_50 Depth 2
	s_and_saveexec_b64 s[10:11], vcc
	s_cbranch_execz .LBB56_47
; %bb.49:                               ;   in Loop: Header=BB56_48 Depth=1
	s_mov_b64 s[16:17], 0
	v_mov_b32_e32 v11, v10
	v_mov_b64_e32 v[0:1], v[6:7]
	v_mov_b64_e32 v[8:9], v[4:5]
.LBB56_50:                              ;   Parent Loop BB56_48 Depth=1
                                        ; =>  This Inner Loop Header: Depth=2
	ds_read_b64 v[12:13], v11
	v_lshl_add_u64 v[8:9], v[8:9], 0, 2
	v_cmp_le_i64_e64 s[0:1], s[14:15], v[8:9]
	v_add_u32_e32 v11, s18, v11
	s_or_b64 s[16:17], s[0:1], s[16:17]
	s_waitcnt lgkmcnt(0)
	flat_store_dwordx2 v[0:1], v[12:13]
	v_lshl_add_u64 v[0:1], v[0:1], 0, s[2:3]
	s_andn2_b64 exec, exec, s[16:17]
	s_cbranch_execnz .LBB56_50
	s_branch .LBB56_47
.LBB56_51:
	s_endpgm
	.section	.rodata,"a",@progbits
	.p2align	6, 0x0
	.amdhsa_kernel _ZN9rocsolver6v33100L18geqr2_kernel_smallILi256E19rocblas_complex_numIfElfPKPS3_EEvT1_S7_T3_lS7_lPT2_lPT0_l
		.amdhsa_group_segment_fixed_size 0
		.amdhsa_private_segment_fixed_size 0
		.amdhsa_kernarg_size 80
		.amdhsa_user_sgpr_count 2
		.amdhsa_user_sgpr_dispatch_ptr 0
		.amdhsa_user_sgpr_queue_ptr 0
		.amdhsa_user_sgpr_kernarg_segment_ptr 1
		.amdhsa_user_sgpr_dispatch_id 0
		.amdhsa_user_sgpr_kernarg_preload_length 0
		.amdhsa_user_sgpr_kernarg_preload_offset 0
		.amdhsa_user_sgpr_private_segment_size 0
		.amdhsa_uses_dynamic_stack 0
		.amdhsa_enable_private_segment 0
		.amdhsa_system_sgpr_workgroup_id_x 1
		.amdhsa_system_sgpr_workgroup_id_y 0
		.amdhsa_system_sgpr_workgroup_id_z 1
		.amdhsa_system_sgpr_workgroup_info 0
		.amdhsa_system_vgpr_workitem_id 0
		.amdhsa_next_free_vgpr 36
		.amdhsa_next_free_sgpr 53
		.amdhsa_accum_offset 36
		.amdhsa_reserve_vcc 1
		.amdhsa_float_round_mode_32 0
		.amdhsa_float_round_mode_16_64 0
		.amdhsa_float_denorm_mode_32 3
		.amdhsa_float_denorm_mode_16_64 3
		.amdhsa_dx10_clamp 1
		.amdhsa_ieee_mode 1
		.amdhsa_fp16_overflow 0
		.amdhsa_tg_split 0
		.amdhsa_exception_fp_ieee_invalid_op 0
		.amdhsa_exception_fp_denorm_src 0
		.amdhsa_exception_fp_ieee_div_zero 0
		.amdhsa_exception_fp_ieee_overflow 0
		.amdhsa_exception_fp_ieee_underflow 0
		.amdhsa_exception_fp_ieee_inexact 0
		.amdhsa_exception_int_div_zero 0
	.end_amdhsa_kernel
	.section	.text._ZN9rocsolver6v33100L18geqr2_kernel_smallILi256E19rocblas_complex_numIfElfPKPS3_EEvT1_S7_T3_lS7_lPT2_lPT0_l,"axG",@progbits,_ZN9rocsolver6v33100L18geqr2_kernel_smallILi256E19rocblas_complex_numIfElfPKPS3_EEvT1_S7_T3_lS7_lPT2_lPT0_l,comdat
.Lfunc_end56:
	.size	_ZN9rocsolver6v33100L18geqr2_kernel_smallILi256E19rocblas_complex_numIfElfPKPS3_EEvT1_S7_T3_lS7_lPT2_lPT0_l, .Lfunc_end56-_ZN9rocsolver6v33100L18geqr2_kernel_smallILi256E19rocblas_complex_numIfElfPKPS3_EEvT1_S7_T3_lS7_lPT2_lPT0_l
                                        ; -- End function
	.set _ZN9rocsolver6v33100L18geqr2_kernel_smallILi256E19rocblas_complex_numIfElfPKPS3_EEvT1_S7_T3_lS7_lPT2_lPT0_l.num_vgpr, 36
	.set _ZN9rocsolver6v33100L18geqr2_kernel_smallILi256E19rocblas_complex_numIfElfPKPS3_EEvT1_S7_T3_lS7_lPT2_lPT0_l.num_agpr, 0
	.set _ZN9rocsolver6v33100L18geqr2_kernel_smallILi256E19rocblas_complex_numIfElfPKPS3_EEvT1_S7_T3_lS7_lPT2_lPT0_l.numbered_sgpr, 53
	.set _ZN9rocsolver6v33100L18geqr2_kernel_smallILi256E19rocblas_complex_numIfElfPKPS3_EEvT1_S7_T3_lS7_lPT2_lPT0_l.num_named_barrier, 0
	.set _ZN9rocsolver6v33100L18geqr2_kernel_smallILi256E19rocblas_complex_numIfElfPKPS3_EEvT1_S7_T3_lS7_lPT2_lPT0_l.private_seg_size, 0
	.set _ZN9rocsolver6v33100L18geqr2_kernel_smallILi256E19rocblas_complex_numIfElfPKPS3_EEvT1_S7_T3_lS7_lPT2_lPT0_l.uses_vcc, 1
	.set _ZN9rocsolver6v33100L18geqr2_kernel_smallILi256E19rocblas_complex_numIfElfPKPS3_EEvT1_S7_T3_lS7_lPT2_lPT0_l.uses_flat_scratch, 0
	.set _ZN9rocsolver6v33100L18geqr2_kernel_smallILi256E19rocblas_complex_numIfElfPKPS3_EEvT1_S7_T3_lS7_lPT2_lPT0_l.has_dyn_sized_stack, 0
	.set _ZN9rocsolver6v33100L18geqr2_kernel_smallILi256E19rocblas_complex_numIfElfPKPS3_EEvT1_S7_T3_lS7_lPT2_lPT0_l.has_recursion, 0
	.set _ZN9rocsolver6v33100L18geqr2_kernel_smallILi256E19rocblas_complex_numIfElfPKPS3_EEvT1_S7_T3_lS7_lPT2_lPT0_l.has_indirect_call, 0
	.section	.AMDGPU.csdata,"",@progbits
; Kernel info:
; codeLenInByte = 2888
; TotalNumSgprs: 59
; NumVgprs: 36
; NumAgprs: 0
; TotalNumVgprs: 36
; ScratchSize: 0
; MemoryBound: 0
; FloatMode: 240
; IeeeMode: 1
; LDSByteSize: 0 bytes/workgroup (compile time only)
; SGPRBlocks: 7
; VGPRBlocks: 4
; NumSGPRsForWavesPerEU: 59
; NumVGPRsForWavesPerEU: 36
; AccumOffset: 36
; Occupancy: 8
; WaveLimiterHint : 0
; COMPUTE_PGM_RSRC2:SCRATCH_EN: 0
; COMPUTE_PGM_RSRC2:USER_SGPR: 2
; COMPUTE_PGM_RSRC2:TRAP_HANDLER: 0
; COMPUTE_PGM_RSRC2:TGID_X_EN: 1
; COMPUTE_PGM_RSRC2:TGID_Y_EN: 0
; COMPUTE_PGM_RSRC2:TGID_Z_EN: 1
; COMPUTE_PGM_RSRC2:TIDIG_COMP_CNT: 0
; COMPUTE_PGM_RSRC3_GFX90A:ACCUM_OFFSET: 8
; COMPUTE_PGM_RSRC3_GFX90A:TG_SPLIT: 0
	.section	.text._ZN9rocsolver6v33100L8set_diagI19rocblas_complex_numIfElfPKPS3_TnNSt9enable_ifIXaa18rocblas_is_complexIT_Ent18rocblas_is_complexIT1_EEiE4typeELi0EEEvPS9_llT2_lT0_lSE_b,"axG",@progbits,_ZN9rocsolver6v33100L8set_diagI19rocblas_complex_numIfElfPKPS3_TnNSt9enable_ifIXaa18rocblas_is_complexIT_Ent18rocblas_is_complexIT1_EEiE4typeELi0EEEvPS9_llT2_lT0_lSE_b,comdat
	.globl	_ZN9rocsolver6v33100L8set_diagI19rocblas_complex_numIfElfPKPS3_TnNSt9enable_ifIXaa18rocblas_is_complexIT_Ent18rocblas_is_complexIT1_EEiE4typeELi0EEEvPS9_llT2_lT0_lSE_b ; -- Begin function _ZN9rocsolver6v33100L8set_diagI19rocblas_complex_numIfElfPKPS3_TnNSt9enable_ifIXaa18rocblas_is_complexIT_Ent18rocblas_is_complexIT1_EEiE4typeELi0EEEvPS9_llT2_lT0_lSE_b
	.p2align	8
	.type	_ZN9rocsolver6v33100L8set_diagI19rocblas_complex_numIfElfPKPS3_TnNSt9enable_ifIXaa18rocblas_is_complexIT_Ent18rocblas_is_complexIT1_EEiE4typeELi0EEEvPS9_llT2_lT0_lSE_b,@function
_ZN9rocsolver6v33100L8set_diagI19rocblas_complex_numIfElfPKPS3_TnNSt9enable_ifIXaa18rocblas_is_complexIT_Ent18rocblas_is_complexIT1_EEiE4typeELi0EEEvPS9_llT2_lT0_lSE_b: ; @_ZN9rocsolver6v33100L8set_diagI19rocblas_complex_numIfElfPKPS3_TnNSt9enable_ifIXaa18rocblas_is_complexIT_Ent18rocblas_is_complexIT1_EEiE4typeELi0EEEvPS9_llT2_lT0_lSE_b
; %bb.0:
	s_load_dword s6, s[0:1], 0x54
	s_load_dwordx2 s[4:5], s[0:1], 0x38
	v_bfe_u32 v0, v0, 10, 10
	v_mov_b32_e32 v1, 0
	s_waitcnt lgkmcnt(0)
	s_lshr_b32 s6, s6, 16
	s_mul_i32 s3, s3, s6
	v_add_u32_e32 v0, s3, v0
	v_cmp_gt_i64_e32 vcc, s[4:5], v[0:1]
	s_and_saveexec_b64 s[4:5], vcc
	s_cbranch_execz .LBB57_4
; %bb.1:
	s_load_dword s16, s[0:1], 0x40
	s_load_dwordx4 s[12:15], s[0:1], 0x20
	s_load_dwordx8 s[4:11], s[0:1], 0x0
	s_mov_b32 s3, 0
	s_waitcnt lgkmcnt(0)
	s_bitcmp1_b32 s16, 0
	s_cselect_b64 s[0:1], -1, 0
	s_lshl_b64 s[16:17], s[2:3], 3
	s_add_u32 s10, s10, s16
	s_addc_u32 s11, s11, s17
	s_load_dwordx2 s[10:11], s[10:11], 0x0
	v_mad_u64_u32 v[2:3], s[16:17], v0, s14, v[0:1]
	s_lshl_b64 s[12:13], s[12:13], 3
	v_mov_b32_e32 v4, v3
	s_waitcnt lgkmcnt(0)
	s_add_u32 s10, s10, s12
	s_addc_u32 s11, s11, s13
	v_mad_u64_u32 v[4:5], s[12:13], v0, s15, v[4:5]
	v_mov_b32_e32 v3, v4
	v_lshl_add_u64 v[2:3], v[2:3], 3, s[10:11]
	flat_load_dword v4, v[2:3]
	s_mul_i32 s3, s9, s2
	s_mul_hi_u32 s9, s8, s2
	s_mul_i32 s2, s8, s2
	s_add_i32 s3, s9, s3
	s_lshl_b64 s[2:3], s[2:3], 2
	s_add_u32 s4, s4, s2
	s_addc_u32 s5, s5, s3
	s_lshl_b64 s[2:3], s[6:7], 2
	s_add_u32 s2, s4, s2
	s_addc_u32 s3, s5, s3
	s_and_b64 vcc, exec, s[0:1]
	v_lshl_add_u64 v[6:7], v[0:1], 2, s[2:3]
	v_mov_b32_e32 v0, 1.0
	s_waitcnt vmcnt(0) lgkmcnt(0)
	global_store_dword v[6:7], v4, off
	s_cbranch_vccnz .LBB57_3
; %bb.2:
	flat_load_dword v1, v[2:3] offset:4
	v_mov_b32_e32 v0, v4
.LBB57_3:
	s_waitcnt vmcnt(0) lgkmcnt(0)
	flat_store_dwordx2 v[2:3], v[0:1]
.LBB57_4:
	s_endpgm
	.section	.rodata,"a",@progbits
	.p2align	6, 0x0
	.amdhsa_kernel _ZN9rocsolver6v33100L8set_diagI19rocblas_complex_numIfElfPKPS3_TnNSt9enable_ifIXaa18rocblas_is_complexIT_Ent18rocblas_is_complexIT1_EEiE4typeELi0EEEvPS9_llT2_lT0_lSE_b
		.amdhsa_group_segment_fixed_size 0
		.amdhsa_private_segment_fixed_size 0
		.amdhsa_kernarg_size 328
		.amdhsa_user_sgpr_count 2
		.amdhsa_user_sgpr_dispatch_ptr 0
		.amdhsa_user_sgpr_queue_ptr 0
		.amdhsa_user_sgpr_kernarg_segment_ptr 1
		.amdhsa_user_sgpr_dispatch_id 0
		.amdhsa_user_sgpr_kernarg_preload_length 0
		.amdhsa_user_sgpr_kernarg_preload_offset 0
		.amdhsa_user_sgpr_private_segment_size 0
		.amdhsa_uses_dynamic_stack 0
		.amdhsa_enable_private_segment 0
		.amdhsa_system_sgpr_workgroup_id_x 1
		.amdhsa_system_sgpr_workgroup_id_y 1
		.amdhsa_system_sgpr_workgroup_id_z 0
		.amdhsa_system_sgpr_workgroup_info 0
		.amdhsa_system_vgpr_workitem_id 1
		.amdhsa_next_free_vgpr 8
		.amdhsa_next_free_sgpr 18
		.amdhsa_accum_offset 8
		.amdhsa_reserve_vcc 1
		.amdhsa_float_round_mode_32 0
		.amdhsa_float_round_mode_16_64 0
		.amdhsa_float_denorm_mode_32 3
		.amdhsa_float_denorm_mode_16_64 3
		.amdhsa_dx10_clamp 1
		.amdhsa_ieee_mode 1
		.amdhsa_fp16_overflow 0
		.amdhsa_tg_split 0
		.amdhsa_exception_fp_ieee_invalid_op 0
		.amdhsa_exception_fp_denorm_src 0
		.amdhsa_exception_fp_ieee_div_zero 0
		.amdhsa_exception_fp_ieee_overflow 0
		.amdhsa_exception_fp_ieee_underflow 0
		.amdhsa_exception_fp_ieee_inexact 0
		.amdhsa_exception_int_div_zero 0
	.end_amdhsa_kernel
	.section	.text._ZN9rocsolver6v33100L8set_diagI19rocblas_complex_numIfElfPKPS3_TnNSt9enable_ifIXaa18rocblas_is_complexIT_Ent18rocblas_is_complexIT1_EEiE4typeELi0EEEvPS9_llT2_lT0_lSE_b,"axG",@progbits,_ZN9rocsolver6v33100L8set_diagI19rocblas_complex_numIfElfPKPS3_TnNSt9enable_ifIXaa18rocblas_is_complexIT_Ent18rocblas_is_complexIT1_EEiE4typeELi0EEEvPS9_llT2_lT0_lSE_b,comdat
.Lfunc_end57:
	.size	_ZN9rocsolver6v33100L8set_diagI19rocblas_complex_numIfElfPKPS3_TnNSt9enable_ifIXaa18rocblas_is_complexIT_Ent18rocblas_is_complexIT1_EEiE4typeELi0EEEvPS9_llT2_lT0_lSE_b, .Lfunc_end57-_ZN9rocsolver6v33100L8set_diagI19rocblas_complex_numIfElfPKPS3_TnNSt9enable_ifIXaa18rocblas_is_complexIT_Ent18rocblas_is_complexIT1_EEiE4typeELi0EEEvPS9_llT2_lT0_lSE_b
                                        ; -- End function
	.set _ZN9rocsolver6v33100L8set_diagI19rocblas_complex_numIfElfPKPS3_TnNSt9enable_ifIXaa18rocblas_is_complexIT_Ent18rocblas_is_complexIT1_EEiE4typeELi0EEEvPS9_llT2_lT0_lSE_b.num_vgpr, 8
	.set _ZN9rocsolver6v33100L8set_diagI19rocblas_complex_numIfElfPKPS3_TnNSt9enable_ifIXaa18rocblas_is_complexIT_Ent18rocblas_is_complexIT1_EEiE4typeELi0EEEvPS9_llT2_lT0_lSE_b.num_agpr, 0
	.set _ZN9rocsolver6v33100L8set_diagI19rocblas_complex_numIfElfPKPS3_TnNSt9enable_ifIXaa18rocblas_is_complexIT_Ent18rocblas_is_complexIT1_EEiE4typeELi0EEEvPS9_llT2_lT0_lSE_b.numbered_sgpr, 18
	.set _ZN9rocsolver6v33100L8set_diagI19rocblas_complex_numIfElfPKPS3_TnNSt9enable_ifIXaa18rocblas_is_complexIT_Ent18rocblas_is_complexIT1_EEiE4typeELi0EEEvPS9_llT2_lT0_lSE_b.num_named_barrier, 0
	.set _ZN9rocsolver6v33100L8set_diagI19rocblas_complex_numIfElfPKPS3_TnNSt9enable_ifIXaa18rocblas_is_complexIT_Ent18rocblas_is_complexIT1_EEiE4typeELi0EEEvPS9_llT2_lT0_lSE_b.private_seg_size, 0
	.set _ZN9rocsolver6v33100L8set_diagI19rocblas_complex_numIfElfPKPS3_TnNSt9enable_ifIXaa18rocblas_is_complexIT_Ent18rocblas_is_complexIT1_EEiE4typeELi0EEEvPS9_llT2_lT0_lSE_b.uses_vcc, 1
	.set _ZN9rocsolver6v33100L8set_diagI19rocblas_complex_numIfElfPKPS3_TnNSt9enable_ifIXaa18rocblas_is_complexIT_Ent18rocblas_is_complexIT1_EEiE4typeELi0EEEvPS9_llT2_lT0_lSE_b.uses_flat_scratch, 0
	.set _ZN9rocsolver6v33100L8set_diagI19rocblas_complex_numIfElfPKPS3_TnNSt9enable_ifIXaa18rocblas_is_complexIT_Ent18rocblas_is_complexIT1_EEiE4typeELi0EEEvPS9_llT2_lT0_lSE_b.has_dyn_sized_stack, 0
	.set _ZN9rocsolver6v33100L8set_diagI19rocblas_complex_numIfElfPKPS3_TnNSt9enable_ifIXaa18rocblas_is_complexIT_Ent18rocblas_is_complexIT1_EEiE4typeELi0EEEvPS9_llT2_lT0_lSE_b.has_recursion, 0
	.set _ZN9rocsolver6v33100L8set_diagI19rocblas_complex_numIfElfPKPS3_TnNSt9enable_ifIXaa18rocblas_is_complexIT_Ent18rocblas_is_complexIT1_EEiE4typeELi0EEEvPS9_llT2_lT0_lSE_b.has_indirect_call, 0
	.section	.AMDGPU.csdata,"",@progbits
; Kernel info:
; codeLenInByte = 272
; TotalNumSgprs: 24
; NumVgprs: 8
; NumAgprs: 0
; TotalNumVgprs: 8
; ScratchSize: 0
; MemoryBound: 0
; FloatMode: 240
; IeeeMode: 1
; LDSByteSize: 0 bytes/workgroup (compile time only)
; SGPRBlocks: 2
; VGPRBlocks: 0
; NumSGPRsForWavesPerEU: 24
; NumVGPRsForWavesPerEU: 8
; AccumOffset: 8
; Occupancy: 8
; WaveLimiterHint : 1
; COMPUTE_PGM_RSRC2:SCRATCH_EN: 0
; COMPUTE_PGM_RSRC2:USER_SGPR: 2
; COMPUTE_PGM_RSRC2:TRAP_HANDLER: 0
; COMPUTE_PGM_RSRC2:TGID_X_EN: 1
; COMPUTE_PGM_RSRC2:TGID_Y_EN: 1
; COMPUTE_PGM_RSRC2:TGID_Z_EN: 0
; COMPUTE_PGM_RSRC2:TIDIG_COMP_CNT: 1
; COMPUTE_PGM_RSRC3_GFX90A:ACCUM_OFFSET: 1
; COMPUTE_PGM_RSRC3_GFX90A:TG_SPLIT: 0
	.section	.text._ZN9rocsolver6v33100L11set_taubetaI19rocblas_complex_numIfElfPKPS3_EEvPT_lS8_T2_llPT1_ll,"axG",@progbits,_ZN9rocsolver6v33100L11set_taubetaI19rocblas_complex_numIfElfPKPS3_EEvPT_lS8_T2_llPT1_ll,comdat
	.globl	_ZN9rocsolver6v33100L11set_taubetaI19rocblas_complex_numIfElfPKPS3_EEvPT_lS8_T2_llPT1_ll ; -- Begin function _ZN9rocsolver6v33100L11set_taubetaI19rocblas_complex_numIfElfPKPS3_EEvPT_lS8_T2_llPT1_ll
	.p2align	8
	.type	_ZN9rocsolver6v33100L11set_taubetaI19rocblas_complex_numIfElfPKPS3_EEvPT_lS8_T2_llPT1_ll,@function
_ZN9rocsolver6v33100L11set_taubetaI19rocblas_complex_numIfElfPKPS3_EEvPT_lS8_T2_llPT1_ll: ; @_ZN9rocsolver6v33100L11set_taubetaI19rocblas_complex_numIfElfPKPS3_EEvPT_lS8_T2_llPT1_ll
; %bb.0:
	s_load_dwordx8 s[4:11], s[0:1], 0x0
	s_load_dwordx2 s[22:23], s[0:1], 0x20
	s_load_dwordx4 s[12:15], s[0:1], 0x30
	s_mov_b32 s3, 0
	s_lshl_b64 s[20:21], s[2:3], 3
	s_waitcnt lgkmcnt(0)
	s_add_u32 s10, s10, s20
	s_addc_u32 s11, s11, s21
	s_load_dwordx2 s[10:11], s[10:11], 0x0
	s_mov_b64 s[16:17], 0
	s_cmp_eq_u64 s[12:13], 0
	s_mov_b64 s[18:19], 0
	s_cbranch_scc1 .LBB58_2
; %bb.1:
	s_load_dwordx2 s[0:1], s[0:1], 0x40
	s_waitcnt lgkmcnt(0)
	s_mul_i32 s1, s1, s2
	s_mul_hi_u32 s3, s0, s2
	s_mul_i32 s0, s0, s2
	s_add_i32 s1, s3, s1
	s_lshl_b64 s[0:1], s[0:1], 2
	s_add_u32 s3, s12, s0
	s_addc_u32 s12, s13, s1
	s_lshl_b64 s[0:1], s[14:15], 2
	s_add_u32 s18, s3, s0
	s_addc_u32 s19, s12, s1
.LBB58_2:
	s_lshl_b64 s[0:1], s[22:23], 3
	s_waitcnt lgkmcnt(0)
	s_add_u32 s10, s10, s0
	s_addc_u32 s11, s11, s1
	v_mov_b64_e32 v[0:1], s[10:11]
	flat_load_dword v0, v[0:1] offset:4
	s_mul_i32 s1, s7, s2
	s_mul_hi_u32 s3, s6, s2
	s_mul_i32 s0, s6, s2
	s_add_i32 s1, s3, s1
	s_lshl_b64 s[0:1], s[0:1], 3
	s_add_u32 s12, s4, s0
	s_addc_u32 s13, s5, s1
	s_add_u32 s8, s8, s20
	s_addc_u32 s9, s9, s21
	s_load_dword s6, s[8:9], 0x0
	s_cmp_lg_u64 s[18:19], 0
	s_cselect_b64 s[0:1], -1, 0
	s_waitcnt lgkmcnt(0)
	v_max_f32_e64 v2, s6, s6
	s_waitcnt vmcnt(0)
	v_mul_f32_e32 v1, v0, v0
	v_max_f32_e32 v2, v2, v1
	v_cmp_nlt_f32_e32 vcc, 0, v2
	s_and_saveexec_b64 s[2:3], vcc
	s_xor_b64 s[2:3], exec, s[2:3]
	s_cbranch_execz .LBB58_7
; %bb.3:
	v_mov_b32_e32 v1, 0
	v_mov_b32_e32 v0, 1.0
	v_mov_b32_e32 v2, v1
	v_mov_b32_e32 v3, v1
	s_and_b64 vcc, exec, s[0:1]
	global_store_dwordx2 v1, v[0:1], s[8:9]
	global_store_dwordx2 v1, v[2:3], s[12:13]
	s_cbranch_vccz .LBB58_13
; %bb.4:
	v_mov_b64_e32 v[2:3], s[10:11]
	flat_load_dword v4, v[2:3]
	s_mov_b64 s[4:5], -1
	s_waitcnt vmcnt(0) lgkmcnt(0)
	global_store_dword v1, v4, s[18:19]
	flat_store_dword v[2:3], v0
	s_and_b64 s[16:17], s[4:5], exec
                                        ; implicit-def: $vgpr1
                                        ; implicit-def: $vgpr0
	s_andn2_saveexec_b64 s[14:15], s[2:3]
	s_cbranch_execnz .LBB58_8
.LBB58_5:
	s_or_b64 exec, exec, s[14:15]
	s_and_saveexec_b64 s[0:1], s[16:17]
	s_cbranch_execz .LBB58_12
.LBB58_6:
	v_mov_b32_e32 v2, 0
	v_mov_b64_e32 v[0:1], s[10:11]
	flat_store_dword v[0:1], v2 offset:4
	s_endpgm
.LBB58_7:
	s_andn2_saveexec_b64 s[14:15], s[2:3]
	s_cbranch_execz .LBB58_5
.LBB58_8:
	v_mov_b64_e32 v[2:3], s[10:11]
	flat_load_dword v4, v[2:3]
	s_mov_b32 s2, 0xf800000
	v_mov_b32_e32 v6, 0x260
	s_and_b64 s[0:1], exec, s[0:1]
	s_waitcnt vmcnt(0) lgkmcnt(0)
	v_fma_f32 v2, v4, v4, v1
	v_add_f32_e32 v2, s6, v2
	v_mul_f32_e32 v3, 0x4f800000, v2
	v_cmp_gt_f32_e32 vcc, s2, v2
	s_nop 1
	v_cndmask_b32_e32 v3, v2, v3, vcc
	v_sqrt_f32_e32 v5, v3
	v_mov_b32_e32 v2, 0
	v_add_u32_e32 v7, -1, v5
	v_add_u32_e32 v8, 1, v5
	v_fma_f32 v9, -v7, v5, v3
	v_fma_f32 v10, -v8, v5, v3
	v_cmp_ge_f32_e64 s[2:3], 0, v9
	s_nop 1
	v_cndmask_b32_e64 v5, v5, v7, s[2:3]
	v_cmp_lt_f32_e64 s[2:3], 0, v10
	s_nop 1
	v_cndmask_b32_e64 v5, v5, v8, s[2:3]
	v_mul_f32_e32 v7, 0x37800000, v5
	v_cndmask_b32_e32 v5, v5, v7, vcc
	v_cmp_class_f32_e32 vcc, v3, v6
	s_nop 1
	v_cndmask_b32_e32 v3, v5, v3, vcc
	v_cmp_le_f32_e32 vcc, 0, v4
	s_nop 1
	v_cndmask_b32_e64 v3, v3, -v3, vcc
	v_sub_f32_e32 v5, v4, v3
	v_sub_f32_e32 v6, v3, v4
	v_div_scale_f32 v4, s[2:3], v3, v3, -v0
	v_fmac_f32_e32 v1, v5, v5
	v_div_scale_f32 v8, s[4:5], v3, v3, v6
	v_rcp_f32_e32 v10, v4
	v_div_scale_f32 v11, s[6:7], v1, v1, v5
	v_div_scale_f32 v13, s[6:7], v1, v1, -v0
	v_rcp_f32_e32 v15, v8
	v_rcp_f32_e32 v16, v11
	;; [unrolled: 1-line block ×3, first 2 shown]
	v_fma_f32 v18, -v4, v10, 1.0
	v_div_scale_f32 v7, s[2:3], -v0, v3, -v0
	v_fma_f32 v19, -v8, v15, 1.0
	v_fmac_f32_e32 v10, v18, v10
	v_fma_f32 v18, -v11, v16, 1.0
	v_div_scale_f32 v12, vcc, v5, v1, v5
	v_fma_f32 v20, -v13, v17, 1.0
	v_fmac_f32_e32 v15, v19, v15
	v_mul_f32_e32 v19, v7, v10
	v_fmac_f32_e32 v16, v18, v16
	v_div_scale_f32 v9, s[4:5], v6, v3, v6
	v_div_scale_f32 v14, s[6:7], -v0, v1, -v0
	v_fmac_f32_e32 v17, v20, v17
	v_fma_f32 v20, -v4, v19, v7
	v_mul_f32_e32 v21, v12, v16
	v_mul_f32_e32 v18, v9, v15
	;; [unrolled: 1-line block ×3, first 2 shown]
	v_fmac_f32_e32 v19, v20, v10
	v_fma_f32 v20, -v11, v21, v12
	v_fma_f32 v23, -v8, v18, v9
	;; [unrolled: 1-line block ×3, first 2 shown]
	v_fmac_f32_e32 v21, v20, v16
	v_fmac_f32_e32 v18, v23, v15
	v_fma_f32 v7, -v4, v19, v7
	v_fmac_f32_e32 v22, v24, v17
	v_fma_f32 v4, -v11, v21, v12
	v_fma_f32 v8, -v8, v18, v9
	;; [unrolled: 1-line block ×3, first 2 shown]
	v_div_fmas_f32 v4, v4, v16, v21
	s_mov_b64 vcc, s[6:7]
	v_div_fixup_f32 v4, v4, v1, v5
	v_div_fmas_f32 v5, v9, v17, v22
	s_mov_b64 vcc, s[4:5]
	v_div_fixup_f32 v5, v5, v1, -v0
	v_div_fmas_f32 v1, v8, v15, v18
	s_mov_b64 vcc, s[2:3]
	global_store_dwordx2 v2, v[4:5], s[8:9]
	v_div_fixup_f32 v4, v1, v3, v6
	v_div_fmas_f32 v1, v7, v10, v19
	v_div_fixup_f32 v5, v1, v3, -v0
	s_mov_b64 vcc, s[0:1]
	global_store_dwordx2 v2, v[4:5], s[12:13]
	s_cbranch_vccz .LBB58_14
; %bb.9:
	global_store_dword v2, v3, s[18:19]
	v_mov_b32_e32 v2, 1.0
	v_mov_b64_e32 v[0:1], s[10:11]
	flat_store_dword v[0:1], v2
	s_cbranch_execnz .LBB58_11
.LBB58_10:
	v_mov_b64_e32 v[0:1], s[10:11]
	flat_store_dword v[0:1], v3
.LBB58_11:
	s_or_b64 s[16:17], s[16:17], exec
	s_or_b64 exec, exec, s[14:15]
	s_and_saveexec_b64 s[0:1], s[16:17]
	s_cbranch_execnz .LBB58_6
.LBB58_12:
	s_endpgm
.LBB58_13:
	s_mov_b64 s[4:5], 0
	s_and_b64 s[16:17], s[4:5], exec
                                        ; implicit-def: $vgpr1
                                        ; implicit-def: $vgpr0
	s_andn2_saveexec_b64 s[14:15], s[2:3]
	s_cbranch_execz .LBB58_5
	s_branch .LBB58_8
.LBB58_14:
	s_branch .LBB58_10
	.section	.rodata,"a",@progbits
	.p2align	6, 0x0
	.amdhsa_kernel _ZN9rocsolver6v33100L11set_taubetaI19rocblas_complex_numIfElfPKPS3_EEvPT_lS8_T2_llPT1_ll
		.amdhsa_group_segment_fixed_size 0
		.amdhsa_private_segment_fixed_size 0
		.amdhsa_kernarg_size 72
		.amdhsa_user_sgpr_count 2
		.amdhsa_user_sgpr_dispatch_ptr 0
		.amdhsa_user_sgpr_queue_ptr 0
		.amdhsa_user_sgpr_kernarg_segment_ptr 1
		.amdhsa_user_sgpr_dispatch_id 0
		.amdhsa_user_sgpr_kernarg_preload_length 0
		.amdhsa_user_sgpr_kernarg_preload_offset 0
		.amdhsa_user_sgpr_private_segment_size 0
		.amdhsa_uses_dynamic_stack 0
		.amdhsa_enable_private_segment 0
		.amdhsa_system_sgpr_workgroup_id_x 1
		.amdhsa_system_sgpr_workgroup_id_y 0
		.amdhsa_system_sgpr_workgroup_id_z 0
		.amdhsa_system_sgpr_workgroup_info 0
		.amdhsa_system_vgpr_workitem_id 0
		.amdhsa_next_free_vgpr 25
		.amdhsa_next_free_sgpr 24
		.amdhsa_accum_offset 28
		.amdhsa_reserve_vcc 1
		.amdhsa_float_round_mode_32 0
		.amdhsa_float_round_mode_16_64 0
		.amdhsa_float_denorm_mode_32 3
		.amdhsa_float_denorm_mode_16_64 3
		.amdhsa_dx10_clamp 1
		.amdhsa_ieee_mode 1
		.amdhsa_fp16_overflow 0
		.amdhsa_tg_split 0
		.amdhsa_exception_fp_ieee_invalid_op 0
		.amdhsa_exception_fp_denorm_src 0
		.amdhsa_exception_fp_ieee_div_zero 0
		.amdhsa_exception_fp_ieee_overflow 0
		.amdhsa_exception_fp_ieee_underflow 0
		.amdhsa_exception_fp_ieee_inexact 0
		.amdhsa_exception_int_div_zero 0
	.end_amdhsa_kernel
	.section	.text._ZN9rocsolver6v33100L11set_taubetaI19rocblas_complex_numIfElfPKPS3_EEvPT_lS8_T2_llPT1_ll,"axG",@progbits,_ZN9rocsolver6v33100L11set_taubetaI19rocblas_complex_numIfElfPKPS3_EEvPT_lS8_T2_llPT1_ll,comdat
.Lfunc_end58:
	.size	_ZN9rocsolver6v33100L11set_taubetaI19rocblas_complex_numIfElfPKPS3_EEvPT_lS8_T2_llPT1_ll, .Lfunc_end58-_ZN9rocsolver6v33100L11set_taubetaI19rocblas_complex_numIfElfPKPS3_EEvPT_lS8_T2_llPT1_ll
                                        ; -- End function
	.set _ZN9rocsolver6v33100L11set_taubetaI19rocblas_complex_numIfElfPKPS3_EEvPT_lS8_T2_llPT1_ll.num_vgpr, 25
	.set _ZN9rocsolver6v33100L11set_taubetaI19rocblas_complex_numIfElfPKPS3_EEvPT_lS8_T2_llPT1_ll.num_agpr, 0
	.set _ZN9rocsolver6v33100L11set_taubetaI19rocblas_complex_numIfElfPKPS3_EEvPT_lS8_T2_llPT1_ll.numbered_sgpr, 24
	.set _ZN9rocsolver6v33100L11set_taubetaI19rocblas_complex_numIfElfPKPS3_EEvPT_lS8_T2_llPT1_ll.num_named_barrier, 0
	.set _ZN9rocsolver6v33100L11set_taubetaI19rocblas_complex_numIfElfPKPS3_EEvPT_lS8_T2_llPT1_ll.private_seg_size, 0
	.set _ZN9rocsolver6v33100L11set_taubetaI19rocblas_complex_numIfElfPKPS3_EEvPT_lS8_T2_llPT1_ll.uses_vcc, 1
	.set _ZN9rocsolver6v33100L11set_taubetaI19rocblas_complex_numIfElfPKPS3_EEvPT_lS8_T2_llPT1_ll.uses_flat_scratch, 0
	.set _ZN9rocsolver6v33100L11set_taubetaI19rocblas_complex_numIfElfPKPS3_EEvPT_lS8_T2_llPT1_ll.has_dyn_sized_stack, 0
	.set _ZN9rocsolver6v33100L11set_taubetaI19rocblas_complex_numIfElfPKPS3_EEvPT_lS8_T2_llPT1_ll.has_recursion, 0
	.set _ZN9rocsolver6v33100L11set_taubetaI19rocblas_complex_numIfElfPKPS3_EEvPT_lS8_T2_llPT1_ll.has_indirect_call, 0
	.section	.AMDGPU.csdata,"",@progbits
; Kernel info:
; codeLenInByte = 968
; TotalNumSgprs: 30
; NumVgprs: 25
; NumAgprs: 0
; TotalNumVgprs: 25
; ScratchSize: 0
; MemoryBound: 0
; FloatMode: 240
; IeeeMode: 1
; LDSByteSize: 0 bytes/workgroup (compile time only)
; SGPRBlocks: 3
; VGPRBlocks: 3
; NumSGPRsForWavesPerEU: 30
; NumVGPRsForWavesPerEU: 25
; AccumOffset: 28
; Occupancy: 8
; WaveLimiterHint : 1
; COMPUTE_PGM_RSRC2:SCRATCH_EN: 0
; COMPUTE_PGM_RSRC2:USER_SGPR: 2
; COMPUTE_PGM_RSRC2:TRAP_HANDLER: 0
; COMPUTE_PGM_RSRC2:TGID_X_EN: 1
; COMPUTE_PGM_RSRC2:TGID_Y_EN: 0
; COMPUTE_PGM_RSRC2:TGID_Z_EN: 0
; COMPUTE_PGM_RSRC2:TIDIG_COMP_CNT: 0
; COMPUTE_PGM_RSRC3_GFX90A:ACCUM_OFFSET: 6
; COMPUTE_PGM_RSRC3_GFX90A:TG_SPLIT: 0
	.section	.text._ZN9rocsolver6v33100L13conj_in_placeI19rocblas_complex_numIfElPS3_TnNSt9enable_ifIX18rocblas_is_complexIT_EEiE4typeELi0EEEvT0_S9_T1_lS9_l,"axG",@progbits,_ZN9rocsolver6v33100L13conj_in_placeI19rocblas_complex_numIfElPS3_TnNSt9enable_ifIX18rocblas_is_complexIT_EEiE4typeELi0EEEvT0_S9_T1_lS9_l,comdat
	.globl	_ZN9rocsolver6v33100L13conj_in_placeI19rocblas_complex_numIfElPS3_TnNSt9enable_ifIX18rocblas_is_complexIT_EEiE4typeELi0EEEvT0_S9_T1_lS9_l ; -- Begin function _ZN9rocsolver6v33100L13conj_in_placeI19rocblas_complex_numIfElPS3_TnNSt9enable_ifIX18rocblas_is_complexIT_EEiE4typeELi0EEEvT0_S9_T1_lS9_l
	.p2align	8
	.type	_ZN9rocsolver6v33100L13conj_in_placeI19rocblas_complex_numIfElPS3_TnNSt9enable_ifIX18rocblas_is_complexIT_EEiE4typeELi0EEEvT0_S9_T1_lS9_l,@function
_ZN9rocsolver6v33100L13conj_in_placeI19rocblas_complex_numIfElPS3_TnNSt9enable_ifIX18rocblas_is_complexIT_EEiE4typeELi0EEEvT0_S9_T1_lS9_l: ; @_ZN9rocsolver6v33100L13conj_in_placeI19rocblas_complex_numIfElPS3_TnNSt9enable_ifIX18rocblas_is_complexIT_EEiE4typeELi0EEEvT0_S9_T1_lS9_l
; %bb.0:
	s_load_dword s5, s[0:1], 0x3c
	s_load_dwordx8 s[8:15], s[0:1], 0x0
	v_and_b32_e32 v1, 0x3ff, v0
	v_mov_b32_e32 v3, 0
	v_bfe_u32 v0, v0, 10, 10
	s_waitcnt lgkmcnt(0)
	s_lshr_b32 s6, s5, 16
	s_and_b32 s5, s5, 0xffff
	s_mul_i32 s2, s2, s5
	s_mul_i32 s3, s3, s6
	v_add_u32_e32 v2, s2, v1
	v_add_u32_e32 v0, s3, v0
	v_mov_b32_e32 v1, v3
	v_cmp_gt_i64_e32 vcc, s[8:9], v[2:3]
	v_cmp_gt_i64_e64 s[2:3], s[10:11], v[0:1]
	s_and_b64 s[2:3], vcc, s[2:3]
	s_and_saveexec_b64 s[6:7], s[2:3]
	s_cbranch_execz .LBB59_2
; %bb.1:
	s_load_dwordx4 s[0:3], s[0:1], 0x20
	s_waitcnt lgkmcnt(0)
	s_mul_i32 s3, s3, s4
	s_mul_hi_u32 s5, s2, s4
	s_mul_i32 s2, s2, s4
	s_add_i32 s3, s5, s3
	s_lshl_b64 s[2:3], s[2:3], 3
	s_add_u32 s4, s12, s2
	s_addc_u32 s5, s13, s3
	s_lshl_b64 s[2:3], s[14:15], 3
	s_add_u32 s2, s4, s2
	s_addc_u32 s3, s5, s3
	v_mad_u64_u32 v[4:5], s[4:5], s0, v0, 0
	v_mov_b32_e32 v6, v5
	v_mad_u64_u32 v[0:1], s[0:1], s1, v0, v[6:7]
	v_mov_b32_e32 v5, v0
	v_lshl_add_u64 v[0:1], v[4:5], 3, s[2:3]
	v_lshl_add_u64 v[0:1], v[2:3], 3, v[0:1]
	global_load_dword v2, v[0:1], off offset:4
	s_waitcnt vmcnt(0)
	v_xor_b32_e32 v2, 0x80000000, v2
	global_store_dword v[0:1], v2, off offset:4
.LBB59_2:
	s_endpgm
	.section	.rodata,"a",@progbits
	.p2align	6, 0x0
	.amdhsa_kernel _ZN9rocsolver6v33100L13conj_in_placeI19rocblas_complex_numIfElPS3_TnNSt9enable_ifIX18rocblas_is_complexIT_EEiE4typeELi0EEEvT0_S9_T1_lS9_l
		.amdhsa_group_segment_fixed_size 0
		.amdhsa_private_segment_fixed_size 0
		.amdhsa_kernarg_size 304
		.amdhsa_user_sgpr_count 2
		.amdhsa_user_sgpr_dispatch_ptr 0
		.amdhsa_user_sgpr_queue_ptr 0
		.amdhsa_user_sgpr_kernarg_segment_ptr 1
		.amdhsa_user_sgpr_dispatch_id 0
		.amdhsa_user_sgpr_kernarg_preload_length 0
		.amdhsa_user_sgpr_kernarg_preload_offset 0
		.amdhsa_user_sgpr_private_segment_size 0
		.amdhsa_uses_dynamic_stack 0
		.amdhsa_enable_private_segment 0
		.amdhsa_system_sgpr_workgroup_id_x 1
		.amdhsa_system_sgpr_workgroup_id_y 1
		.amdhsa_system_sgpr_workgroup_id_z 1
		.amdhsa_system_sgpr_workgroup_info 0
		.amdhsa_system_vgpr_workitem_id 1
		.amdhsa_next_free_vgpr 8
		.amdhsa_next_free_sgpr 16
		.amdhsa_accum_offset 8
		.amdhsa_reserve_vcc 1
		.amdhsa_float_round_mode_32 0
		.amdhsa_float_round_mode_16_64 0
		.amdhsa_float_denorm_mode_32 3
		.amdhsa_float_denorm_mode_16_64 3
		.amdhsa_dx10_clamp 1
		.amdhsa_ieee_mode 1
		.amdhsa_fp16_overflow 0
		.amdhsa_tg_split 0
		.amdhsa_exception_fp_ieee_invalid_op 0
		.amdhsa_exception_fp_denorm_src 0
		.amdhsa_exception_fp_ieee_div_zero 0
		.amdhsa_exception_fp_ieee_overflow 0
		.amdhsa_exception_fp_ieee_underflow 0
		.amdhsa_exception_fp_ieee_inexact 0
		.amdhsa_exception_int_div_zero 0
	.end_amdhsa_kernel
	.section	.text._ZN9rocsolver6v33100L13conj_in_placeI19rocblas_complex_numIfElPS3_TnNSt9enable_ifIX18rocblas_is_complexIT_EEiE4typeELi0EEEvT0_S9_T1_lS9_l,"axG",@progbits,_ZN9rocsolver6v33100L13conj_in_placeI19rocblas_complex_numIfElPS3_TnNSt9enable_ifIX18rocblas_is_complexIT_EEiE4typeELi0EEEvT0_S9_T1_lS9_l,comdat
.Lfunc_end59:
	.size	_ZN9rocsolver6v33100L13conj_in_placeI19rocblas_complex_numIfElPS3_TnNSt9enable_ifIX18rocblas_is_complexIT_EEiE4typeELi0EEEvT0_S9_T1_lS9_l, .Lfunc_end59-_ZN9rocsolver6v33100L13conj_in_placeI19rocblas_complex_numIfElPS3_TnNSt9enable_ifIX18rocblas_is_complexIT_EEiE4typeELi0EEEvT0_S9_T1_lS9_l
                                        ; -- End function
	.set _ZN9rocsolver6v33100L13conj_in_placeI19rocblas_complex_numIfElPS3_TnNSt9enable_ifIX18rocblas_is_complexIT_EEiE4typeELi0EEEvT0_S9_T1_lS9_l.num_vgpr, 8
	.set _ZN9rocsolver6v33100L13conj_in_placeI19rocblas_complex_numIfElPS3_TnNSt9enable_ifIX18rocblas_is_complexIT_EEiE4typeELi0EEEvT0_S9_T1_lS9_l.num_agpr, 0
	.set _ZN9rocsolver6v33100L13conj_in_placeI19rocblas_complex_numIfElPS3_TnNSt9enable_ifIX18rocblas_is_complexIT_EEiE4typeELi0EEEvT0_S9_T1_lS9_l.numbered_sgpr, 16
	.set _ZN9rocsolver6v33100L13conj_in_placeI19rocblas_complex_numIfElPS3_TnNSt9enable_ifIX18rocblas_is_complexIT_EEiE4typeELi0EEEvT0_S9_T1_lS9_l.num_named_barrier, 0
	.set _ZN9rocsolver6v33100L13conj_in_placeI19rocblas_complex_numIfElPS3_TnNSt9enable_ifIX18rocblas_is_complexIT_EEiE4typeELi0EEEvT0_S9_T1_lS9_l.private_seg_size, 0
	.set _ZN9rocsolver6v33100L13conj_in_placeI19rocblas_complex_numIfElPS3_TnNSt9enable_ifIX18rocblas_is_complexIT_EEiE4typeELi0EEEvT0_S9_T1_lS9_l.uses_vcc, 1
	.set _ZN9rocsolver6v33100L13conj_in_placeI19rocblas_complex_numIfElPS3_TnNSt9enable_ifIX18rocblas_is_complexIT_EEiE4typeELi0EEEvT0_S9_T1_lS9_l.uses_flat_scratch, 0
	.set _ZN9rocsolver6v33100L13conj_in_placeI19rocblas_complex_numIfElPS3_TnNSt9enable_ifIX18rocblas_is_complexIT_EEiE4typeELi0EEEvT0_S9_T1_lS9_l.has_dyn_sized_stack, 0
	.set _ZN9rocsolver6v33100L13conj_in_placeI19rocblas_complex_numIfElPS3_TnNSt9enable_ifIX18rocblas_is_complexIT_EEiE4typeELi0EEEvT0_S9_T1_lS9_l.has_recursion, 0
	.set _ZN9rocsolver6v33100L13conj_in_placeI19rocblas_complex_numIfElPS3_TnNSt9enable_ifIX18rocblas_is_complexIT_EEiE4typeELi0EEEvT0_S9_T1_lS9_l.has_indirect_call, 0
	.section	.AMDGPU.csdata,"",@progbits
; Kernel info:
; codeLenInByte = 220
; TotalNumSgprs: 22
; NumVgprs: 8
; NumAgprs: 0
; TotalNumVgprs: 8
; ScratchSize: 0
; MemoryBound: 0
; FloatMode: 240
; IeeeMode: 1
; LDSByteSize: 0 bytes/workgroup (compile time only)
; SGPRBlocks: 2
; VGPRBlocks: 0
; NumSGPRsForWavesPerEU: 22
; NumVGPRsForWavesPerEU: 8
; AccumOffset: 8
; Occupancy: 8
; WaveLimiterHint : 0
; COMPUTE_PGM_RSRC2:SCRATCH_EN: 0
; COMPUTE_PGM_RSRC2:USER_SGPR: 2
; COMPUTE_PGM_RSRC2:TRAP_HANDLER: 0
; COMPUTE_PGM_RSRC2:TGID_X_EN: 1
; COMPUTE_PGM_RSRC2:TGID_Y_EN: 1
; COMPUTE_PGM_RSRC2:TGID_Z_EN: 1
; COMPUTE_PGM_RSRC2:TIDIG_COMP_CNT: 1
; COMPUTE_PGM_RSRC3_GFX90A:ACCUM_OFFSET: 1
; COMPUTE_PGM_RSRC3_GFX90A:TG_SPLIT: 0
	.section	.text._ZN9rocsolver6v33100L16larf_left_kernelILi1024E19rocblas_complex_numIfElPKPS3_EEvT1_S7_T2_lS7_lPKT0_lS8_lS7_l,"axG",@progbits,_ZN9rocsolver6v33100L16larf_left_kernelILi1024E19rocblas_complex_numIfElPKPS3_EEvT1_S7_T2_lS7_lPKT0_lS8_lS7_l,comdat
	.globl	_ZN9rocsolver6v33100L16larf_left_kernelILi1024E19rocblas_complex_numIfElPKPS3_EEvT1_S7_T2_lS7_lPKT0_lS8_lS7_l ; -- Begin function _ZN9rocsolver6v33100L16larf_left_kernelILi1024E19rocblas_complex_numIfElPKPS3_EEvT1_S7_T2_lS7_lPKT0_lS8_lS7_l
	.p2align	8
	.type	_ZN9rocsolver6v33100L16larf_left_kernelILi1024E19rocblas_complex_numIfElPKPS3_EEvT1_S7_T2_lS7_lPKT0_lS8_lS7_l,@function
_ZN9rocsolver6v33100L16larf_left_kernelILi1024E19rocblas_complex_numIfElPKPS3_EEvT1_S7_T2_lS7_lPKT0_lS8_lS7_l: ; @_ZN9rocsolver6v33100L16larf_left_kernelILi1024E19rocblas_complex_numIfElPKPS3_EEvT1_S7_T2_lS7_lPKT0_lS8_lS7_l
; %bb.0:
	s_load_dwordx2 s[6:7], s[0:1], 0x0
	s_load_dwordx4 s[16:19], s[0:1], 0x10
	s_load_dwordx2 s[20:21], s[0:1], 0x20
	s_load_dwordx8 s[8:15], s[0:1], 0x30
	s_load_dwordx2 s[24:25], s[0:1], 0x50
	s_mov_b32 s5, 0
	s_lshl_b64 s[22:23], s[4:5], 3
	s_waitcnt lgkmcnt(0)
	s_add_u32 s0, s16, s22
	s_addc_u32 s1, s17, s23
	s_add_u32 s12, s12, s22
	s_addc_u32 s13, s13, s23
	s_load_dwordx2 s[12:13], s[12:13], 0x0
	v_cmp_gt_i64_e64 s[16:17], s[20:21], 0
	s_mov_b64 s[22:23], 0
	s_and_b64 vcc, exec, s[16:17]
	s_cbranch_vccnz .LBB60_2
; %bb.1:
	s_sub_u32 s2, 1, s6
	s_subb_u32 s5, 0, s7
	s_mul_i32 s5, s20, s5
	s_mul_hi_u32 s16, s20, s2
	s_add_i32 s5, s16, s5
	s_mul_i32 s16, s21, s2
	s_add_i32 s23, s5, s16
	s_mul_i32 s22, s20, s2
.LBB60_2:
	v_mov_b32_e32 v1, 0
	v_cmp_gt_i64_e32 vcc, s[6:7], v[0:1]
	s_mul_i32 s5, s25, s3
	s_mul_hi_u32 s25, s24, s3
	s_mul_i32 s2, s24, s3
	v_mov_b32_e32 v5, v1
	v_mov_b32_e32 v4, v1
	s_and_saveexec_b64 s[16:17], vcc
	s_cbranch_execz .LBB60_8
; %bb.3:
	s_load_dwordx2 s[0:1], s[0:1], 0x0
	v_mad_u64_u32 v[2:3], s[26:27], s20, v0, 0
	s_lshl_b64 s[22:23], s[22:23], 3
	s_lshl_b64 s[18:19], s[18:19], 3
	v_mov_b32_e32 v4, v3
	s_waitcnt lgkmcnt(0)
	s_add_u32 s0, s0, s18
	v_mad_u64_u32 v[4:5], s[26:27], s21, v0, v[4:5]
	s_addc_u32 s1, s1, s19
	v_mov_b32_e32 v3, v4
	s_add_u32 s0, s0, s22
	v_lshl_add_u32 v4, v0, 3, 0
	s_addc_u32 s1, s1, s23
	v_add_u32_e32 v8, 0x80, v4
	v_lshl_add_u64 v[2:3], v[2:3], 3, s[0:1]
	s_lshl_b64 s[18:19], s[20:21], 13
	s_mov_b64 s[20:21], 0
	s_mov_b64 s[22:23], 0x400
	v_mov_b32_e32 v6, v8
	v_mov_b64_e32 v[4:5], v[0:1]
.LBB60_4:                               ; =>This Inner Loop Header: Depth=1
	flat_load_dwordx2 v[10:11], v[2:3]
	v_lshl_add_u64 v[4:5], v[4:5], 0, s[22:23]
	v_cmp_le_i64_e64 s[0:1], s[6:7], v[4:5]
	v_lshl_add_u64 v[2:3], v[2:3], 0, s[18:19]
	s_or_b64 s[20:21], s[0:1], s[20:21]
	s_waitcnt vmcnt(0) lgkmcnt(0)
	ds_write_b64 v6, v[10:11]
	v_add_u32_e32 v6, 0x2000, v6
	s_andn2_b64 exec, exec, s[20:21]
	s_cbranch_execnz .LBB60_4
; %bb.5:
	s_or_b64 exec, exec, s[20:21]
	s_add_i32 s3, s25, s5
	s_lshl_b64 s[0:1], s[2:3], 3
	s_lshl_b64 s[18:19], s[14:15], 3
	s_add_u32 s0, s0, s18
	s_addc_u32 s1, s1, s19
	s_add_u32 s0, s12, s0
	v_lshlrev_b32_e32 v2, 3, v0
	v_mov_b32_e32 v3, 0
	s_addc_u32 s1, s13, s1
	v_lshl_add_u64 v[4:5], s[0:1], 0, v[2:3]
	s_mov_b64 s[18:19], 0
	s_mov_b64 s[20:21], 0x400
	;; [unrolled: 1-line block ×3, first 2 shown]
	v_mov_b64_e32 v[6:7], v[0:1]
	v_mov_b32_e32 v2, v3
.LBB60_6:                               ; =>This Inner Loop Header: Depth=1
	flat_load_dwordx2 v[10:11], v[4:5]
	ds_read_b64 v[12:13], v8
	v_lshl_add_u64 v[6:7], v[6:7], 0, s[20:21]
	v_cmp_le_i64_e64 s[0:1], s[6:7], v[6:7]
	v_lshl_add_u64 v[4:5], v[4:5], 0, s[22:23]
	v_add_u32_e32 v8, 0x2000, v8
	s_or_b64 s[18:19], s[0:1], s[18:19]
	s_waitcnt vmcnt(0) lgkmcnt(0)
	v_mul_f32_e32 v14, v10, v12
	v_mul_f32_e32 v16, v11, v12
	v_pk_fma_f32 v[14:15], v[10:11], v[12:13], v[14:15] op_sel_hi:[1,1,0]
	v_pk_fma_f32 v[10:11], v[10:11], v[12:13], v[16:17] op_sel:[0,1,0] op_sel_hi:[1,0,0] neg_lo:[0,0,1] neg_hi:[0,0,1]
	s_nop 0
	v_mov_b32_e32 v11, v15
	v_pk_add_f32 v[2:3], v[2:3], v[10:11]
	s_andn2_b64 exec, exec, s[18:19]
	s_cbranch_execnz .LBB60_6
; %bb.7:
	s_or_b64 exec, exec, s[18:19]
	v_mov_b32_e32 v5, v2
	v_mov_b32_e32 v4, v3
.LBB60_8:
	s_or_b64 exec, exec, s[16:17]
	v_mbcnt_lo_u32_b32 v2, -1, 0
	v_mbcnt_hi_u32_b32 v6, -1, v2
	v_and_b32_e32 v7, 63, v6
	v_cmp_ne_u32_e64 s[0:1], 63, v7
	s_nop 1
	v_addc_co_u32_e64 v2, s[0:1], 0, v6, s[0:1]
	v_lshlrev_b32_e32 v3, 2, v2
	ds_bpermute_b32 v2, v3, v4
	ds_bpermute_b32 v3, v3, v5
	v_cmp_gt_u32_e64 s[0:1], 62, v7
	s_waitcnt lgkmcnt(0)
	v_pk_add_f32 v[2:3], v[4:5], v[2:3]
	v_cndmask_b32_e64 v8, 0, 2, s[0:1]
	v_add_lshl_u32 v8, v8, v6, 2
	ds_bpermute_b32 v4, v8, v2
	ds_bpermute_b32 v5, v8, v3
	v_cmp_gt_u32_e64 s[0:1], 60, v7
	s_waitcnt lgkmcnt(0)
	v_pk_add_f32 v[2:3], v[2:3], v[4:5]
	v_cndmask_b32_e64 v8, 0, 4, s[0:1]
	v_add_lshl_u32 v8, v8, v6, 2
	;; [unrolled: 7-line block ×4, first 2 shown]
	ds_bpermute_b32 v4, v7, v2
	ds_bpermute_b32 v5, v7, v3
	v_mov_b32_e32 v7, 0x80
	v_lshl_or_b32 v6, v6, 2, v7
	s_waitcnt lgkmcnt(0)
	v_pk_add_f32 v[2:3], v[2:3], v[4:5]
	ds_bpermute_b32 v4, v6, v2
	ds_bpermute_b32 v5, v6, v3
	v_and_b32_e32 v6, 63, v0
	v_cmp_eq_u32_e64 s[0:1], 0, v6
	s_waitcnt lgkmcnt(0)
	v_pk_add_f32 v[2:3], v[2:3], v[4:5]
	s_and_saveexec_b64 s[16:17], s[0:1]
; %bb.9:
	v_lshrrev_b32_e32 v4, 3, v0
	v_add_u32_e32 v4, 0, v4
	ds_write2_b32 v4, v2, v3 offset1:1
; %bb.10:
	s_or_b64 exec, exec, s[16:17]
	v_cmp_eq_u32_e64 s[0:1], 0, v0
	s_waitcnt lgkmcnt(0)
	s_barrier
	s_and_saveexec_b64 s[16:17], s[0:1]
	s_cbranch_execz .LBB60_12
; %bb.11:
	v_mov_b32_e32 v24, 0
	ds_read2_b64 v[4:7], v24 offset0:1 offset1:2
	ds_read2_b64 v[8:11], v24 offset0:3 offset1:4
	ds_read2_b64 v[12:15], v24 offset0:5 offset1:6
	ds_read2_b64 v[16:19], v24 offset0:7 offset1:8
	ds_read2_b64 v[20:23], v24 offset0:9 offset1:10
	s_waitcnt lgkmcnt(4)
	v_pk_add_f32 v[2:3], v[2:3], v[4:5]
	s_nop 0
	v_pk_add_f32 v[2:3], v[2:3], v[6:7]
	s_waitcnt lgkmcnt(3)
	v_pk_add_f32 v[2:3], v[2:3], v[8:9]
	s_nop 0
	v_pk_add_f32 v[2:3], v[2:3], v[10:11]
	s_waitcnt lgkmcnt(2)
	v_pk_add_f32 v[2:3], v[2:3], v[12:13]
	ds_read_b64 v[12:13], v24 offset:120
	v_pk_add_f32 v[2:3], v[2:3], v[14:15]
	s_waitcnt lgkmcnt(2)
	v_pk_add_f32 v[2:3], v[2:3], v[16:17]
	s_nop 0
	v_pk_add_f32 v[6:7], v[2:3], v[18:19]
	ds_read2_b64 v[2:5], v24 offset0:11 offset1:12
	s_waitcnt lgkmcnt(2)
	v_pk_add_f32 v[10:11], v[6:7], v[20:21]
	ds_read2_b64 v[6:9], v24 offset0:13 offset1:14
	v_pk_add_f32 v[10:11], v[10:11], v[22:23]
	s_waitcnt lgkmcnt(1)
	v_pk_add_f32 v[2:3], v[10:11], v[2:3]
	s_nop 0
	v_pk_add_f32 v[2:3], v[2:3], v[4:5]
	s_waitcnt lgkmcnt(0)
	v_pk_add_f32 v[2:3], v[2:3], v[6:7]
	s_nop 0
	v_pk_add_f32 v[2:3], v[2:3], v[8:9]
	s_nop 0
	v_pk_add_f32 v[2:3], v[2:3], v[12:13]
	ds_write_b64 v24, v[2:3]
.LBB60_12:
	s_or_b64 exec, exec, s[16:17]
	s_waitcnt lgkmcnt(0)
	s_barrier
	s_and_saveexec_b64 s[0:1], vcc
	s_cbranch_execz .LBB60_15
; %bb.13:
	s_mul_i32 s0, s11, s4
	s_mul_hi_u32 s1, s10, s4
	s_add_i32 s1, s1, s0
	s_mul_i32 s0, s10, s4
	s_lshl_b64 s[0:1], s[0:1], 3
	s_add_u32 s0, s8, s0
	s_addc_u32 s1, s9, s1
	v_mov_b32_e32 v9, 0
	ds_read_b64 v[4:5], v9
	s_load_dwordx2 s[8:9], s[0:1], 0x0
	s_add_i32 s3, s25, s5
	s_lshl_b64 s[0:1], s[2:3], 3
	s_lshl_b64 s[2:3], s[14:15], 3
	s_add_u32 s0, s0, s2
	s_addc_u32 s1, s1, s3
	s_add_u32 s0, s12, s0
	s_waitcnt lgkmcnt(0)
	v_mul_f32_e32 v2, s9, v5
	v_mul_f32_e32 v3, s9, v4
	v_lshlrev_b32_e32 v8, 3, v0
	s_addc_u32 s1, s13, s1
	v_fma_f32 v2, v4, -s8, -v2
	v_fma_f32 v4, s8, v5, -v3
	v_lshl_add_u64 v[6:7], s[0:1], 0, v[8:9]
	v_add_u32_e32 v8, 0, v8
	v_mov_b32_e32 v5, v4
	v_mov_b32_e32 v3, v2
	v_add_u32_e32 v8, 0x80, v8
	s_mov_b64 s[0:1], 0
	s_mov_b64 s[2:3], 0x400
	;; [unrolled: 1-line block ×3, first 2 shown]
.LBB60_14:                              ; =>This Inner Loop Header: Depth=1
	flat_load_dwordx2 v[10:11], v[6:7]
	ds_read_b64 v[12:13], v8
	v_lshl_add_u64 v[0:1], v[0:1], 0, s[2:3]
	v_cmp_le_i64_e32 vcc, s[6:7], v[0:1]
	s_or_b64 s[0:1], vcc, s[0:1]
	v_add_u32_e32 v8, 0x2000, v8
	s_waitcnt lgkmcnt(0)
	v_pk_mul_f32 v[14:15], v[4:5], v[12:13] op_sel:[0,1] op_sel_hi:[1,0]
	s_nop 0
	v_pk_fma_f32 v[16:17], v[2:3], v[12:13], v[14:15] neg_lo:[0,0,1] neg_hi:[0,0,1]
	v_pk_fma_f32 v[12:13], v[2:3], v[12:13], v[14:15]
	s_nop 0
	v_mov_b32_e32 v17, v13
	s_waitcnt vmcnt(0)
	v_pk_add_f32 v[10:11], v[10:11], v[16:17]
	flat_store_dwordx2 v[6:7], v[10:11]
	v_lshl_add_u64 v[6:7], v[6:7], 0, s[4:5]
	s_andn2_b64 exec, exec, s[0:1]
	s_cbranch_execnz .LBB60_14
.LBB60_15:
	s_endpgm
	.section	.rodata,"a",@progbits
	.p2align	6, 0x0
	.amdhsa_kernel _ZN9rocsolver6v33100L16larf_left_kernelILi1024E19rocblas_complex_numIfElPKPS3_EEvT1_S7_T2_lS7_lPKT0_lS8_lS7_l
		.amdhsa_group_segment_fixed_size 0
		.amdhsa_private_segment_fixed_size 0
		.amdhsa_kernarg_size 96
		.amdhsa_user_sgpr_count 2
		.amdhsa_user_sgpr_dispatch_ptr 0
		.amdhsa_user_sgpr_queue_ptr 0
		.amdhsa_user_sgpr_kernarg_segment_ptr 1
		.amdhsa_user_sgpr_dispatch_id 0
		.amdhsa_user_sgpr_kernarg_preload_length 0
		.amdhsa_user_sgpr_kernarg_preload_offset 0
		.amdhsa_user_sgpr_private_segment_size 0
		.amdhsa_uses_dynamic_stack 0
		.amdhsa_enable_private_segment 0
		.amdhsa_system_sgpr_workgroup_id_x 1
		.amdhsa_system_sgpr_workgroup_id_y 1
		.amdhsa_system_sgpr_workgroup_id_z 1
		.amdhsa_system_sgpr_workgroup_info 0
		.amdhsa_system_vgpr_workitem_id 0
		.amdhsa_next_free_vgpr 25
		.amdhsa_next_free_sgpr 28
		.amdhsa_accum_offset 28
		.amdhsa_reserve_vcc 1
		.amdhsa_float_round_mode_32 0
		.amdhsa_float_round_mode_16_64 0
		.amdhsa_float_denorm_mode_32 3
		.amdhsa_float_denorm_mode_16_64 3
		.amdhsa_dx10_clamp 1
		.amdhsa_ieee_mode 1
		.amdhsa_fp16_overflow 0
		.amdhsa_tg_split 0
		.amdhsa_exception_fp_ieee_invalid_op 0
		.amdhsa_exception_fp_denorm_src 0
		.amdhsa_exception_fp_ieee_div_zero 0
		.amdhsa_exception_fp_ieee_overflow 0
		.amdhsa_exception_fp_ieee_underflow 0
		.amdhsa_exception_fp_ieee_inexact 0
		.amdhsa_exception_int_div_zero 0
	.end_amdhsa_kernel
	.section	.text._ZN9rocsolver6v33100L16larf_left_kernelILi1024E19rocblas_complex_numIfElPKPS3_EEvT1_S7_T2_lS7_lPKT0_lS8_lS7_l,"axG",@progbits,_ZN9rocsolver6v33100L16larf_left_kernelILi1024E19rocblas_complex_numIfElPKPS3_EEvT1_S7_T2_lS7_lPKT0_lS8_lS7_l,comdat
.Lfunc_end60:
	.size	_ZN9rocsolver6v33100L16larf_left_kernelILi1024E19rocblas_complex_numIfElPKPS3_EEvT1_S7_T2_lS7_lPKT0_lS8_lS7_l, .Lfunc_end60-_ZN9rocsolver6v33100L16larf_left_kernelILi1024E19rocblas_complex_numIfElPKPS3_EEvT1_S7_T2_lS7_lPKT0_lS8_lS7_l
                                        ; -- End function
	.set _ZN9rocsolver6v33100L16larf_left_kernelILi1024E19rocblas_complex_numIfElPKPS3_EEvT1_S7_T2_lS7_lPKT0_lS8_lS7_l.num_vgpr, 25
	.set _ZN9rocsolver6v33100L16larf_left_kernelILi1024E19rocblas_complex_numIfElPKPS3_EEvT1_S7_T2_lS7_lPKT0_lS8_lS7_l.num_agpr, 0
	.set _ZN9rocsolver6v33100L16larf_left_kernelILi1024E19rocblas_complex_numIfElPKPS3_EEvT1_S7_T2_lS7_lPKT0_lS8_lS7_l.numbered_sgpr, 28
	.set _ZN9rocsolver6v33100L16larf_left_kernelILi1024E19rocblas_complex_numIfElPKPS3_EEvT1_S7_T2_lS7_lPKT0_lS8_lS7_l.num_named_barrier, 0
	.set _ZN9rocsolver6v33100L16larf_left_kernelILi1024E19rocblas_complex_numIfElPKPS3_EEvT1_S7_T2_lS7_lPKT0_lS8_lS7_l.private_seg_size, 0
	.set _ZN9rocsolver6v33100L16larf_left_kernelILi1024E19rocblas_complex_numIfElPKPS3_EEvT1_S7_T2_lS7_lPKT0_lS8_lS7_l.uses_vcc, 1
	.set _ZN9rocsolver6v33100L16larf_left_kernelILi1024E19rocblas_complex_numIfElPKPS3_EEvT1_S7_T2_lS7_lPKT0_lS8_lS7_l.uses_flat_scratch, 0
	.set _ZN9rocsolver6v33100L16larf_left_kernelILi1024E19rocblas_complex_numIfElPKPS3_EEvT1_S7_T2_lS7_lPKT0_lS8_lS7_l.has_dyn_sized_stack, 0
	.set _ZN9rocsolver6v33100L16larf_left_kernelILi1024E19rocblas_complex_numIfElPKPS3_EEvT1_S7_T2_lS7_lPKT0_lS8_lS7_l.has_recursion, 0
	.set _ZN9rocsolver6v33100L16larf_left_kernelILi1024E19rocblas_complex_numIfElPKPS3_EEvT1_S7_T2_lS7_lPKT0_lS8_lS7_l.has_indirect_call, 0
	.section	.AMDGPU.csdata,"",@progbits
; Kernel info:
; codeLenInByte = 1460
; TotalNumSgprs: 34
; NumVgprs: 25
; NumAgprs: 0
; TotalNumVgprs: 25
; ScratchSize: 0
; MemoryBound: 0
; FloatMode: 240
; IeeeMode: 1
; LDSByteSize: 0 bytes/workgroup (compile time only)
; SGPRBlocks: 4
; VGPRBlocks: 3
; NumSGPRsForWavesPerEU: 34
; NumVGPRsForWavesPerEU: 25
; AccumOffset: 28
; Occupancy: 8
; WaveLimiterHint : 0
; COMPUTE_PGM_RSRC2:SCRATCH_EN: 0
; COMPUTE_PGM_RSRC2:USER_SGPR: 2
; COMPUTE_PGM_RSRC2:TRAP_HANDLER: 0
; COMPUTE_PGM_RSRC2:TGID_X_EN: 1
; COMPUTE_PGM_RSRC2:TGID_Y_EN: 1
; COMPUTE_PGM_RSRC2:TGID_Z_EN: 1
; COMPUTE_PGM_RSRC2:TIDIG_COMP_CNT: 0
; COMPUTE_PGM_RSRC3_GFX90A:ACCUM_OFFSET: 6
; COMPUTE_PGM_RSRC3_GFX90A:TG_SPLIT: 0
	.section	.text._ZN9rocsolver6v33100L17larf_right_kernelILi1024E19rocblas_complex_numIfElPKPS3_EEvT1_S7_T2_lS7_lPKT0_lS8_lS7_l,"axG",@progbits,_ZN9rocsolver6v33100L17larf_right_kernelILi1024E19rocblas_complex_numIfElPKPS3_EEvT1_S7_T2_lS7_lPKT0_lS8_lS7_l,comdat
	.globl	_ZN9rocsolver6v33100L17larf_right_kernelILi1024E19rocblas_complex_numIfElPKPS3_EEvT1_S7_T2_lS7_lPKT0_lS8_lS7_l ; -- Begin function _ZN9rocsolver6v33100L17larf_right_kernelILi1024E19rocblas_complex_numIfElPKPS3_EEvT1_S7_T2_lS7_lPKT0_lS8_lS7_l
	.p2align	8
	.type	_ZN9rocsolver6v33100L17larf_right_kernelILi1024E19rocblas_complex_numIfElPKPS3_EEvT1_S7_T2_lS7_lPKT0_lS8_lS7_l,@function
_ZN9rocsolver6v33100L17larf_right_kernelILi1024E19rocblas_complex_numIfElPKPS3_EEvT1_S7_T2_lS7_lPKT0_lS8_lS7_l: ; @_ZN9rocsolver6v33100L17larf_right_kernelILi1024E19rocblas_complex_numIfElPKPS3_EEvT1_S7_T2_lS7_lPKT0_lS8_lS7_l
; %bb.0:
	s_mov_b32 s2, s3
	s_load_dwordx8 s[8:15], s[0:1], 0x8
	s_load_dwordx8 s[16:23], s[0:1], 0x30
	s_load_dwordx2 s[6:7], s[0:1], 0x50
	s_mov_b32 s3, 0
	s_mov_b32 s5, s3
	s_lshl_b64 s[24:25], s[4:5], 3
	s_waitcnt lgkmcnt(0)
	s_add_u32 s0, s10, s24
	s_addc_u32 s1, s11, s25
	s_add_u32 s10, s20, s24
	s_addc_u32 s11, s21, s25
	s_load_dwordx2 s[10:11], s[10:11], 0x0
	v_cmp_gt_i64_e64 s[20:21], s[14:15], 0
	s_mov_b64 s[24:25], 0
	s_and_b64 vcc, exec, s[20:21]
	s_cbranch_vccnz .LBB61_2
; %bb.1:
	s_sub_u32 s5, 1, s8
	s_subb_u32 s20, 0, s9
	s_mul_i32 s20, s14, s20
	s_mul_hi_u32 s21, s14, s5
	s_add_i32 s20, s21, s20
	s_mul_i32 s21, s15, s5
	s_add_i32 s25, s20, s21
	s_mul_i32 s24, s14, s5
.LBB61_2:
	v_mov_b32_e32 v1, 0
	v_cmp_gt_i64_e32 vcc, s[8:9], v[0:1]
	v_lshl_add_u32 v8, v0, 3, 0
	v_mov_b32_e32 v3, v1
	v_mov_b32_e32 v2, v1
	s_and_saveexec_b64 s[20:21], vcc
	s_cbranch_execz .LBB61_8
; %bb.3:
	s_load_dwordx2 s[0:1], s[0:1], 0x0
	s_lshl_b64 s[24:25], s[24:25], 3
	s_lshl_b64 s[12:13], s[12:13], 3
	v_mad_u64_u32 v[2:3], s[26:27], s14, v0, 0
	s_waitcnt lgkmcnt(0)
	s_add_u32 s0, s0, s12
	v_mov_b32_e32 v4, v3
	s_addc_u32 s1, s1, s13
	v_mad_u64_u32 v[4:5], s[26:27], s15, v0, v[4:5]
	s_add_u32 s0, s0, s24
	v_mov_b32_e32 v3, v4
	s_addc_u32 s1, s1, s25
	v_add_u32_e32 v9, 0x80, v8
	v_lshl_add_u64 v[2:3], v[2:3], 3, s[0:1]
	s_lshl_b64 s[12:13], s[14:15], 13
	s_mov_b64 s[14:15], 0
	s_mov_b64 s[24:25], 0x400
	v_mov_b32_e32 v6, v9
	v_mov_b64_e32 v[4:5], v[0:1]
.LBB61_4:                               ; =>This Inner Loop Header: Depth=1
	flat_load_dwordx2 v[10:11], v[2:3]
	v_lshl_add_u64 v[4:5], v[4:5], 0, s[24:25]
	v_cmp_le_i64_e64 s[0:1], s[8:9], v[4:5]
	v_lshl_add_u64 v[2:3], v[2:3], 0, s[12:13]
	s_or_b64 s[14:15], s[0:1], s[14:15]
	s_waitcnt vmcnt(0) lgkmcnt(0)
	ds_write_b64 v6, v[10:11]
	v_add_u32_e32 v6, 0x2000, v6
	s_andn2_b64 exec, exec, s[14:15]
	s_cbranch_execnz .LBB61_4
; %bb.5:
	s_or_b64 exec, exec, s[14:15]
	v_mad_u64_u32 v[2:3], s[0:1], s6, v0, 0
	v_mov_b32_e32 v4, v3
	v_mad_u64_u32 v[4:5], s[0:1], s7, v0, v[4:5]
	s_lshl_b64 s[0:1], s[22:23], 3
	s_lshl_b64 s[12:13], s[2:3], 3
	s_add_u32 s5, s10, s12
	s_addc_u32 s12, s11, s13
	s_add_u32 s0, s5, s0
	v_mov_b32_e32 v3, v4
	s_addc_u32 s1, s12, s1
	v_lshl_add_u64 v[4:5], v[2:3], 3, s[0:1]
	v_mov_b32_e32 v3, 0
	s_lshl_b64 s[12:13], s[6:7], 13
	s_mov_b64 s[14:15], 0
	s_mov_b64 s[24:25], 0x400
	v_mov_b64_e32 v[6:7], v[0:1]
	v_mov_b32_e32 v2, v3
.LBB61_6:                               ; =>This Inner Loop Header: Depth=1
	flat_load_dwordx2 v[10:11], v[4:5]
	ds_read_b64 v[12:13], v9
	v_lshl_add_u64 v[6:7], v[6:7], 0, s[24:25]
	v_cmp_le_i64_e64 s[0:1], s[8:9], v[6:7]
	v_lshl_add_u64 v[4:5], v[4:5], 0, s[12:13]
	v_add_u32_e32 v9, 0x2000, v9
	s_or_b64 s[14:15], s[0:1], s[14:15]
	s_waitcnt vmcnt(0) lgkmcnt(0)
	v_mul_f32_e32 v14, v13, v11
	v_mul_f32_e32 v11, v12, v11
	v_fma_f32 v12, v12, v10, -v14
	v_fmac_f32_e32 v11, v13, v10
	v_add_f32_e32 v2, v2, v12
	v_add_f32_e32 v3, v3, v11
	s_andn2_b64 exec, exec, s[14:15]
	s_cbranch_execnz .LBB61_6
; %bb.7:
	s_or_b64 exec, exec, s[14:15]
.LBB61_8:
	s_or_b64 exec, exec, s[20:21]
	v_mbcnt_lo_u32_b32 v4, -1, 0
	v_mbcnt_hi_u32_b32 v6, -1, v4
	v_and_b32_e32 v7, 63, v6
	v_cmp_ne_u32_e64 s[0:1], 63, v7
	s_nop 1
	v_addc_co_u32_e64 v4, s[0:1], 0, v6, s[0:1]
	v_lshlrev_b32_e32 v5, 2, v4
	ds_bpermute_b32 v4, v5, v2
	ds_bpermute_b32 v5, v5, v3
	v_cmp_gt_u32_e64 s[0:1], 62, v7
	s_waitcnt lgkmcnt(0)
	v_pk_add_f32 v[2:3], v[2:3], v[4:5]
	v_cndmask_b32_e64 v9, 0, 2, s[0:1]
	v_add_lshl_u32 v9, v9, v6, 2
	ds_bpermute_b32 v4, v9, v2
	ds_bpermute_b32 v5, v9, v3
	v_cmp_gt_u32_e64 s[0:1], 60, v7
	s_waitcnt lgkmcnt(0)
	v_pk_add_f32 v[2:3], v[2:3], v[4:5]
	v_cndmask_b32_e64 v9, 0, 4, s[0:1]
	v_add_lshl_u32 v9, v9, v6, 2
	;; [unrolled: 7-line block ×4, first 2 shown]
	ds_bpermute_b32 v4, v7, v2
	ds_bpermute_b32 v5, v7, v3
	v_mov_b32_e32 v7, 0x80
	v_lshl_or_b32 v6, v6, 2, v7
	s_waitcnt lgkmcnt(0)
	v_pk_add_f32 v[2:3], v[2:3], v[4:5]
	ds_bpermute_b32 v4, v6, v2
	ds_bpermute_b32 v5, v6, v3
	v_and_b32_e32 v6, 63, v0
	v_cmp_eq_u32_e64 s[0:1], 0, v6
	s_waitcnt lgkmcnt(0)
	v_pk_add_f32 v[2:3], v[2:3], v[4:5]
	s_and_saveexec_b64 s[12:13], s[0:1]
; %bb.9:
	v_lshrrev_b32_e32 v4, 3, v0
	v_add_u32_e32 v4, 0, v4
	ds_write2_b32 v4, v2, v3 offset1:1
; %bb.10:
	s_or_b64 exec, exec, s[12:13]
	v_cmp_eq_u32_e64 s[0:1], 0, v0
	s_waitcnt lgkmcnt(0)
	s_barrier
	s_and_saveexec_b64 s[12:13], s[0:1]
	s_cbranch_execz .LBB61_12
; %bb.11:
	v_mov_b32_e32 v9, 0
	ds_read2_b64 v[4:7], v9 offset0:1 offset1:2
	ds_read2_b64 v[10:13], v9 offset0:3 offset1:4
	;; [unrolled: 1-line block ×5, first 2 shown]
	s_waitcnt lgkmcnt(4)
	v_pk_add_f32 v[2:3], v[2:3], v[4:5]
	s_nop 0
	v_pk_add_f32 v[2:3], v[2:3], v[6:7]
	s_waitcnt lgkmcnt(3)
	v_pk_add_f32 v[2:3], v[2:3], v[10:11]
	s_nop 0
	v_pk_add_f32 v[2:3], v[2:3], v[12:13]
	ds_read2_b64 v[10:13], v9 offset0:13 offset1:14
	s_waitcnt lgkmcnt(3)
	v_pk_add_f32 v[2:3], v[2:3], v[14:15]
	ds_read_b64 v[14:15], v9 offset:120
	v_pk_add_f32 v[2:3], v[2:3], v[16:17]
	s_waitcnt lgkmcnt(3)
	v_pk_add_f32 v[2:3], v[2:3], v[18:19]
	s_nop 0
	v_pk_add_f32 v[6:7], v[2:3], v[20:21]
	ds_read2_b64 v[2:5], v9 offset0:11 offset1:12
	s_waitcnt lgkmcnt(3)
	v_pk_add_f32 v[6:7], v[6:7], v[22:23]
	s_nop 0
	v_pk_add_f32 v[6:7], v[6:7], v[24:25]
	s_waitcnt lgkmcnt(0)
	v_pk_add_f32 v[2:3], v[6:7], v[2:3]
	s_nop 0
	v_pk_add_f32 v[2:3], v[2:3], v[4:5]
	s_nop 0
	;; [unrolled: 2-line block ×4, first 2 shown]
	v_pk_add_f32 v[2:3], v[2:3], v[14:15]
	ds_write_b64 v9, v[2:3]
.LBB61_12:
	s_or_b64 exec, exec, s[12:13]
	s_waitcnt lgkmcnt(0)
	s_barrier
	s_and_saveexec_b64 s[0:1], vcc
	s_cbranch_execz .LBB61_15
; %bb.13:
	s_mul_i32 s0, s19, s4
	s_mul_hi_u32 s1, s18, s4
	s_add_i32 s1, s1, s0
	s_mul_i32 s0, s18, s4
	s_lshl_b64 s[0:1], s[0:1], 3
	s_add_u32 s0, s16, s0
	s_addc_u32 s1, s17, s1
	v_mov_b32_e32 v2, 0
	s_load_dwordx2 s[4:5], s[0:1], 0x0
	v_mad_u64_u32 v[6:7], s[0:1], s6, v0, 0
	ds_read_b64 v[4:5], v2
	v_mov_b32_e32 v10, v7
	v_mad_u64_u32 v[10:11], s[0:1], s7, v0, v[10:11]
	s_lshl_b64 s[0:1], s[22:23], 3
	s_lshl_b64 s[2:3], s[2:3], 3
	s_add_u32 s2, s10, s2
	s_addc_u32 s3, s11, s3
	s_waitcnt lgkmcnt(0)
	v_mul_f32_e32 v2, s4, v4
	v_mul_f32_e32 v3, s4, v5
	s_add_u32 s0, s2, s0
	v_fma_f32 v2, s5, v5, -v2
	v_fma_f32 v4, v4, -s5, -v3
	v_mov_b32_e32 v7, v10
	s_addc_u32 s1, s3, s1
	v_mov_b32_e32 v5, v4
	v_mov_b32_e32 v3, v2
	v_lshl_add_u64 v[6:7], v[6:7], 3, s[0:1]
	s_lshl_b64 s[0:1], s[6:7], 13
	v_add_u32_e32 v8, 0x80, v8
	s_mov_b64 s[2:3], 0
	s_mov_b64 s[4:5], 0x400
.LBB61_14:                              ; =>This Inner Loop Header: Depth=1
	flat_load_dwordx2 v[10:11], v[6:7]
	ds_read_b64 v[12:13], v8
	v_lshl_add_u64 v[0:1], v[0:1], 0, s[4:5]
	v_cmp_le_i64_e32 vcc, s[8:9], v[0:1]
	s_or_b64 s[2:3], vcc, s[2:3]
	v_add_u32_e32 v8, 0x2000, v8
	s_waitcnt lgkmcnt(0)
	v_pk_mul_f32 v[14:15], v[2:3], v[12:13]
	s_nop 0
	v_pk_fma_f32 v[16:17], v[4:5], v[12:13], v[14:15] op_sel:[0,1,0] op_sel_hi:[1,0,1]
	v_pk_fma_f32 v[12:13], v[4:5], v[12:13], v[14:15] op_sel:[0,1,0] op_sel_hi:[1,0,1] neg_lo:[0,0,1] neg_hi:[0,0,1]
	s_nop 0
	v_mov_b32_e32 v17, v13
	s_waitcnt vmcnt(0)
	v_pk_add_f32 v[10:11], v[10:11], v[16:17]
	flat_store_dwordx2 v[6:7], v[10:11]
	v_lshl_add_u64 v[6:7], v[6:7], 0, s[0:1]
	s_andn2_b64 exec, exec, s[2:3]
	s_cbranch_execnz .LBB61_14
.LBB61_15:
	s_endpgm
	.section	.rodata,"a",@progbits
	.p2align	6, 0x0
	.amdhsa_kernel _ZN9rocsolver6v33100L17larf_right_kernelILi1024E19rocblas_complex_numIfElPKPS3_EEvT1_S7_T2_lS7_lPKT0_lS8_lS7_l
		.amdhsa_group_segment_fixed_size 0
		.amdhsa_private_segment_fixed_size 0
		.amdhsa_kernarg_size 96
		.amdhsa_user_sgpr_count 2
		.amdhsa_user_sgpr_dispatch_ptr 0
		.amdhsa_user_sgpr_queue_ptr 0
		.amdhsa_user_sgpr_kernarg_segment_ptr 1
		.amdhsa_user_sgpr_dispatch_id 0
		.amdhsa_user_sgpr_kernarg_preload_length 0
		.amdhsa_user_sgpr_kernarg_preload_offset 0
		.amdhsa_user_sgpr_private_segment_size 0
		.amdhsa_uses_dynamic_stack 0
		.amdhsa_enable_private_segment 0
		.amdhsa_system_sgpr_workgroup_id_x 1
		.amdhsa_system_sgpr_workgroup_id_y 1
		.amdhsa_system_sgpr_workgroup_id_z 1
		.amdhsa_system_sgpr_workgroup_info 0
		.amdhsa_system_vgpr_workitem_id 0
		.amdhsa_next_free_vgpr 26
		.amdhsa_next_free_sgpr 28
		.amdhsa_accum_offset 28
		.amdhsa_reserve_vcc 1
		.amdhsa_float_round_mode_32 0
		.amdhsa_float_round_mode_16_64 0
		.amdhsa_float_denorm_mode_32 3
		.amdhsa_float_denorm_mode_16_64 3
		.amdhsa_dx10_clamp 1
		.amdhsa_ieee_mode 1
		.amdhsa_fp16_overflow 0
		.amdhsa_tg_split 0
		.amdhsa_exception_fp_ieee_invalid_op 0
		.amdhsa_exception_fp_denorm_src 0
		.amdhsa_exception_fp_ieee_div_zero 0
		.amdhsa_exception_fp_ieee_overflow 0
		.amdhsa_exception_fp_ieee_underflow 0
		.amdhsa_exception_fp_ieee_inexact 0
		.amdhsa_exception_int_div_zero 0
	.end_amdhsa_kernel
	.section	.text._ZN9rocsolver6v33100L17larf_right_kernelILi1024E19rocblas_complex_numIfElPKPS3_EEvT1_S7_T2_lS7_lPKT0_lS8_lS7_l,"axG",@progbits,_ZN9rocsolver6v33100L17larf_right_kernelILi1024E19rocblas_complex_numIfElPKPS3_EEvT1_S7_T2_lS7_lPKT0_lS8_lS7_l,comdat
.Lfunc_end61:
	.size	_ZN9rocsolver6v33100L17larf_right_kernelILi1024E19rocblas_complex_numIfElPKPS3_EEvT1_S7_T2_lS7_lPKT0_lS8_lS7_l, .Lfunc_end61-_ZN9rocsolver6v33100L17larf_right_kernelILi1024E19rocblas_complex_numIfElPKPS3_EEvT1_S7_T2_lS7_lPKT0_lS8_lS7_l
                                        ; -- End function
	.set _ZN9rocsolver6v33100L17larf_right_kernelILi1024E19rocblas_complex_numIfElPKPS3_EEvT1_S7_T2_lS7_lPKT0_lS8_lS7_l.num_vgpr, 26
	.set _ZN9rocsolver6v33100L17larf_right_kernelILi1024E19rocblas_complex_numIfElPKPS3_EEvT1_S7_T2_lS7_lPKT0_lS8_lS7_l.num_agpr, 0
	.set _ZN9rocsolver6v33100L17larf_right_kernelILi1024E19rocblas_complex_numIfElPKPS3_EEvT1_S7_T2_lS7_lPKT0_lS8_lS7_l.numbered_sgpr, 28
	.set _ZN9rocsolver6v33100L17larf_right_kernelILi1024E19rocblas_complex_numIfElPKPS3_EEvT1_S7_T2_lS7_lPKT0_lS8_lS7_l.num_named_barrier, 0
	.set _ZN9rocsolver6v33100L17larf_right_kernelILi1024E19rocblas_complex_numIfElPKPS3_EEvT1_S7_T2_lS7_lPKT0_lS8_lS7_l.private_seg_size, 0
	.set _ZN9rocsolver6v33100L17larf_right_kernelILi1024E19rocblas_complex_numIfElPKPS3_EEvT1_S7_T2_lS7_lPKT0_lS8_lS7_l.uses_vcc, 1
	.set _ZN9rocsolver6v33100L17larf_right_kernelILi1024E19rocblas_complex_numIfElPKPS3_EEvT1_S7_T2_lS7_lPKT0_lS8_lS7_l.uses_flat_scratch, 0
	.set _ZN9rocsolver6v33100L17larf_right_kernelILi1024E19rocblas_complex_numIfElPKPS3_EEvT1_S7_T2_lS7_lPKT0_lS8_lS7_l.has_dyn_sized_stack, 0
	.set _ZN9rocsolver6v33100L17larf_right_kernelILi1024E19rocblas_complex_numIfElPKPS3_EEvT1_S7_T2_lS7_lPKT0_lS8_lS7_l.has_recursion, 0
	.set _ZN9rocsolver6v33100L17larf_right_kernelILi1024E19rocblas_complex_numIfElPKPS3_EEvT1_S7_T2_lS7_lPKT0_lS8_lS7_l.has_indirect_call, 0
	.section	.AMDGPU.csdata,"",@progbits
; Kernel info:
; codeLenInByte = 1444
; TotalNumSgprs: 34
; NumVgprs: 26
; NumAgprs: 0
; TotalNumVgprs: 26
; ScratchSize: 0
; MemoryBound: 0
; FloatMode: 240
; IeeeMode: 1
; LDSByteSize: 0 bytes/workgroup (compile time only)
; SGPRBlocks: 4
; VGPRBlocks: 3
; NumSGPRsForWavesPerEU: 34
; NumVGPRsForWavesPerEU: 26
; AccumOffset: 28
; Occupancy: 8
; WaveLimiterHint : 0
; COMPUTE_PGM_RSRC2:SCRATCH_EN: 0
; COMPUTE_PGM_RSRC2:USER_SGPR: 2
; COMPUTE_PGM_RSRC2:TRAP_HANDLER: 0
; COMPUTE_PGM_RSRC2:TGID_X_EN: 1
; COMPUTE_PGM_RSRC2:TGID_Y_EN: 1
; COMPUTE_PGM_RSRC2:TGID_Z_EN: 1
; COMPUTE_PGM_RSRC2:TIDIG_COMP_CNT: 0
; COMPUTE_PGM_RSRC3_GFX90A:ACCUM_OFFSET: 6
; COMPUTE_PGM_RSRC3_GFX90A:TG_SPLIT: 0
	.section	.text._ZN9rocsolver6v33100L9get_arrayI19rocblas_complex_numIfElEEvPPT_S5_lT0_,"axG",@progbits,_ZN9rocsolver6v33100L9get_arrayI19rocblas_complex_numIfElEEvPPT_S5_lT0_,comdat
	.globl	_ZN9rocsolver6v33100L9get_arrayI19rocblas_complex_numIfElEEvPPT_S5_lT0_ ; -- Begin function _ZN9rocsolver6v33100L9get_arrayI19rocblas_complex_numIfElEEvPPT_S5_lT0_
	.p2align	8
	.type	_ZN9rocsolver6v33100L9get_arrayI19rocblas_complex_numIfElEEvPPT_S5_lT0_,@function
_ZN9rocsolver6v33100L9get_arrayI19rocblas_complex_numIfElEEvPPT_S5_lT0_: ; @_ZN9rocsolver6v33100L9get_arrayI19rocblas_complex_numIfElEEvPPT_S5_lT0_
; %bb.0:
	s_load_dword s3, s[0:1], 0x2c
	s_load_dwordx8 s[4:11], s[0:1], 0x0
	v_mov_b32_e32 v1, 0
	v_mov_b32_e32 v2, s2
	s_waitcnt lgkmcnt(0)
	s_and_b32 s0, s3, 0xffff
	v_mad_u64_u32 v[0:1], s[0:1], s0, v2, v[0:1]
	v_cmp_gt_i64_e32 vcc, s[10:11], v[0:1]
	s_and_saveexec_b64 s[0:1], vcc
	s_cbranch_execz .LBB62_2
; %bb.1:
	v_mul_lo_u32 v8, v1, s8
	v_mul_lo_u32 v9, v0, s9
	v_mad_u64_u32 v[6:7], s[0:1], v0, s8, 0
	v_mov_b32_e32 v2, s4
	v_mov_b32_e32 v3, s5
	;; [unrolled: 1-line block ×4, first 2 shown]
	v_add3_u32 v7, v7, v9, v8
	v_lshl_add_u64 v[4:5], v[6:7], 3, v[4:5]
	v_lshl_add_u64 v[0:1], v[0:1], 3, v[2:3]
	global_store_dwordx2 v[0:1], v[4:5], off
.LBB62_2:
	s_endpgm
	.section	.rodata,"a",@progbits
	.p2align	6, 0x0
	.amdhsa_kernel _ZN9rocsolver6v33100L9get_arrayI19rocblas_complex_numIfElEEvPPT_S5_lT0_
		.amdhsa_group_segment_fixed_size 0
		.amdhsa_private_segment_fixed_size 0
		.amdhsa_kernarg_size 288
		.amdhsa_user_sgpr_count 2
		.amdhsa_user_sgpr_dispatch_ptr 0
		.amdhsa_user_sgpr_queue_ptr 0
		.amdhsa_user_sgpr_kernarg_segment_ptr 1
		.amdhsa_user_sgpr_dispatch_id 0
		.amdhsa_user_sgpr_kernarg_preload_length 0
		.amdhsa_user_sgpr_kernarg_preload_offset 0
		.amdhsa_user_sgpr_private_segment_size 0
		.amdhsa_uses_dynamic_stack 0
		.amdhsa_enable_private_segment 0
		.amdhsa_system_sgpr_workgroup_id_x 1
		.amdhsa_system_sgpr_workgroup_id_y 0
		.amdhsa_system_sgpr_workgroup_id_z 0
		.amdhsa_system_sgpr_workgroup_info 0
		.amdhsa_system_vgpr_workitem_id 0
		.amdhsa_next_free_vgpr 10
		.amdhsa_next_free_sgpr 12
		.amdhsa_accum_offset 12
		.amdhsa_reserve_vcc 1
		.amdhsa_float_round_mode_32 0
		.amdhsa_float_round_mode_16_64 0
		.amdhsa_float_denorm_mode_32 3
		.amdhsa_float_denorm_mode_16_64 3
		.amdhsa_dx10_clamp 1
		.amdhsa_ieee_mode 1
		.amdhsa_fp16_overflow 0
		.amdhsa_tg_split 0
		.amdhsa_exception_fp_ieee_invalid_op 0
		.amdhsa_exception_fp_denorm_src 0
		.amdhsa_exception_fp_ieee_div_zero 0
		.amdhsa_exception_fp_ieee_overflow 0
		.amdhsa_exception_fp_ieee_underflow 0
		.amdhsa_exception_fp_ieee_inexact 0
		.amdhsa_exception_int_div_zero 0
	.end_amdhsa_kernel
	.section	.text._ZN9rocsolver6v33100L9get_arrayI19rocblas_complex_numIfElEEvPPT_S5_lT0_,"axG",@progbits,_ZN9rocsolver6v33100L9get_arrayI19rocblas_complex_numIfElEEvPPT_S5_lT0_,comdat
.Lfunc_end62:
	.size	_ZN9rocsolver6v33100L9get_arrayI19rocblas_complex_numIfElEEvPPT_S5_lT0_, .Lfunc_end62-_ZN9rocsolver6v33100L9get_arrayI19rocblas_complex_numIfElEEvPPT_S5_lT0_
                                        ; -- End function
	.set _ZN9rocsolver6v33100L9get_arrayI19rocblas_complex_numIfElEEvPPT_S5_lT0_.num_vgpr, 10
	.set _ZN9rocsolver6v33100L9get_arrayI19rocblas_complex_numIfElEEvPPT_S5_lT0_.num_agpr, 0
	.set _ZN9rocsolver6v33100L9get_arrayI19rocblas_complex_numIfElEEvPPT_S5_lT0_.numbered_sgpr, 12
	.set _ZN9rocsolver6v33100L9get_arrayI19rocblas_complex_numIfElEEvPPT_S5_lT0_.num_named_barrier, 0
	.set _ZN9rocsolver6v33100L9get_arrayI19rocblas_complex_numIfElEEvPPT_S5_lT0_.private_seg_size, 0
	.set _ZN9rocsolver6v33100L9get_arrayI19rocblas_complex_numIfElEEvPPT_S5_lT0_.uses_vcc, 1
	.set _ZN9rocsolver6v33100L9get_arrayI19rocblas_complex_numIfElEEvPPT_S5_lT0_.uses_flat_scratch, 0
	.set _ZN9rocsolver6v33100L9get_arrayI19rocblas_complex_numIfElEEvPPT_S5_lT0_.has_dyn_sized_stack, 0
	.set _ZN9rocsolver6v33100L9get_arrayI19rocblas_complex_numIfElEEvPPT_S5_lT0_.has_recursion, 0
	.set _ZN9rocsolver6v33100L9get_arrayI19rocblas_complex_numIfElEEvPPT_S5_lT0_.has_indirect_call, 0
	.section	.AMDGPU.csdata,"",@progbits
; Kernel info:
; codeLenInByte = 132
; TotalNumSgprs: 18
; NumVgprs: 10
; NumAgprs: 0
; TotalNumVgprs: 10
; ScratchSize: 0
; MemoryBound: 0
; FloatMode: 240
; IeeeMode: 1
; LDSByteSize: 0 bytes/workgroup (compile time only)
; SGPRBlocks: 2
; VGPRBlocks: 1
; NumSGPRsForWavesPerEU: 18
; NumVGPRsForWavesPerEU: 10
; AccumOffset: 12
; Occupancy: 8
; WaveLimiterHint : 0
; COMPUTE_PGM_RSRC2:SCRATCH_EN: 0
; COMPUTE_PGM_RSRC2:USER_SGPR: 2
; COMPUTE_PGM_RSRC2:TRAP_HANDLER: 0
; COMPUTE_PGM_RSRC2:TGID_X_EN: 1
; COMPUTE_PGM_RSRC2:TGID_Y_EN: 0
; COMPUTE_PGM_RSRC2:TGID_Z_EN: 0
; COMPUTE_PGM_RSRC2:TIDIG_COMP_CNT: 0
; COMPUTE_PGM_RSRC3_GFX90A:ACCUM_OFFSET: 2
; COMPUTE_PGM_RSRC3_GFX90A:TG_SPLIT: 0
	.section	.text._ZN9rocsolver6v33100L12restore_diagI19rocblas_complex_numIfElfPKPS3_EEvPT1_llT2_lT0_lSA_,"axG",@progbits,_ZN9rocsolver6v33100L12restore_diagI19rocblas_complex_numIfElfPKPS3_EEvPT1_llT2_lT0_lSA_,comdat
	.globl	_ZN9rocsolver6v33100L12restore_diagI19rocblas_complex_numIfElfPKPS3_EEvPT1_llT2_lT0_lSA_ ; -- Begin function _ZN9rocsolver6v33100L12restore_diagI19rocblas_complex_numIfElfPKPS3_EEvPT1_llT2_lT0_lSA_
	.p2align	8
	.type	_ZN9rocsolver6v33100L12restore_diagI19rocblas_complex_numIfElfPKPS3_EEvPT1_llT2_lT0_lSA_,@function
_ZN9rocsolver6v33100L12restore_diagI19rocblas_complex_numIfElfPKPS3_EEvPT1_llT2_lT0_lSA_: ; @_ZN9rocsolver6v33100L12restore_diagI19rocblas_complex_numIfElfPKPS3_EEvPT1_llT2_lT0_lSA_
; %bb.0:
	s_load_dword s6, s[0:1], 0x4c
	s_load_dwordx2 s[4:5], s[0:1], 0x38
	v_bfe_u32 v0, v0, 10, 10
	v_mov_b32_e32 v1, 0
	s_waitcnt lgkmcnt(0)
	s_lshr_b32 s6, s6, 16
	s_mul_i32 s3, s3, s6
	v_add_u32_e32 v0, s3, v0
	v_cmp_gt_i64_e32 vcc, s[4:5], v[0:1]
	s_and_saveexec_b64 s[4:5], vcc
	s_cbranch_execz .LBB63_2
; %bb.1:
	s_load_dwordx8 s[4:11], s[0:1], 0x0
	s_load_dwordx4 s[12:15], s[0:1], 0x20
	s_mov_b32 s3, 0
	s_lshl_b64 s[0:1], s[2:3], 3
	s_waitcnt lgkmcnt(0)
	s_add_u32 s0, s10, s0
	s_addc_u32 s1, s11, s1
	s_load_dwordx2 s[0:1], s[0:1], 0x0
	s_mul_i32 s3, s9, s2
	s_mul_hi_u32 s10, s8, s2
	s_mul_i32 s2, s8, s2
	s_lshl_b64 s[8:9], s[12:13], 3
	s_waitcnt lgkmcnt(0)
	s_add_u32 s0, s0, s8
	s_addc_u32 s1, s1, s9
	s_add_i32 s3, s10, s3
	s_lshl_b64 s[2:3], s[2:3], 2
	s_add_u32 s4, s4, s2
	s_addc_u32 s5, s5, s3
	s_lshl_b64 s[2:3], s[6:7], 2
	s_add_u32 s2, s4, s2
	s_addc_u32 s3, s5, s3
	v_mad_u64_u32 v[2:3], s[4:5], v0, s14, v[0:1]
	v_mov_b32_e32 v4, v3
	v_lshl_add_u64 v[6:7], v[0:1], 2, s[2:3]
	v_mad_u64_u32 v[4:5], s[4:5], v0, s15, v[4:5]
	global_load_dword v0, v[6:7], off
	v_mov_b32_e32 v3, v4
	v_lshl_add_u64 v[2:3], v[2:3], 3, s[0:1]
	s_waitcnt vmcnt(0)
	flat_store_dwordx2 v[2:3], v[0:1]
.LBB63_2:
	s_endpgm
	.section	.rodata,"a",@progbits
	.p2align	6, 0x0
	.amdhsa_kernel _ZN9rocsolver6v33100L12restore_diagI19rocblas_complex_numIfElfPKPS3_EEvPT1_llT2_lT0_lSA_
		.amdhsa_group_segment_fixed_size 0
		.amdhsa_private_segment_fixed_size 0
		.amdhsa_kernarg_size 320
		.amdhsa_user_sgpr_count 2
		.amdhsa_user_sgpr_dispatch_ptr 0
		.amdhsa_user_sgpr_queue_ptr 0
		.amdhsa_user_sgpr_kernarg_segment_ptr 1
		.amdhsa_user_sgpr_dispatch_id 0
		.amdhsa_user_sgpr_kernarg_preload_length 0
		.amdhsa_user_sgpr_kernarg_preload_offset 0
		.amdhsa_user_sgpr_private_segment_size 0
		.amdhsa_uses_dynamic_stack 0
		.amdhsa_enable_private_segment 0
		.amdhsa_system_sgpr_workgroup_id_x 1
		.amdhsa_system_sgpr_workgroup_id_y 1
		.amdhsa_system_sgpr_workgroup_id_z 0
		.amdhsa_system_sgpr_workgroup_info 0
		.amdhsa_system_vgpr_workitem_id 1
		.amdhsa_next_free_vgpr 8
		.amdhsa_next_free_sgpr 16
		.amdhsa_accum_offset 8
		.amdhsa_reserve_vcc 1
		.amdhsa_float_round_mode_32 0
		.amdhsa_float_round_mode_16_64 0
		.amdhsa_float_denorm_mode_32 3
		.amdhsa_float_denorm_mode_16_64 3
		.amdhsa_dx10_clamp 1
		.amdhsa_ieee_mode 1
		.amdhsa_fp16_overflow 0
		.amdhsa_tg_split 0
		.amdhsa_exception_fp_ieee_invalid_op 0
		.amdhsa_exception_fp_denorm_src 0
		.amdhsa_exception_fp_ieee_div_zero 0
		.amdhsa_exception_fp_ieee_overflow 0
		.amdhsa_exception_fp_ieee_underflow 0
		.amdhsa_exception_fp_ieee_inexact 0
		.amdhsa_exception_int_div_zero 0
	.end_amdhsa_kernel
	.section	.text._ZN9rocsolver6v33100L12restore_diagI19rocblas_complex_numIfElfPKPS3_EEvPT1_llT2_lT0_lSA_,"axG",@progbits,_ZN9rocsolver6v33100L12restore_diagI19rocblas_complex_numIfElfPKPS3_EEvPT1_llT2_lT0_lSA_,comdat
.Lfunc_end63:
	.size	_ZN9rocsolver6v33100L12restore_diagI19rocblas_complex_numIfElfPKPS3_EEvPT1_llT2_lT0_lSA_, .Lfunc_end63-_ZN9rocsolver6v33100L12restore_diagI19rocblas_complex_numIfElfPKPS3_EEvPT1_llT2_lT0_lSA_
                                        ; -- End function
	.set _ZN9rocsolver6v33100L12restore_diagI19rocblas_complex_numIfElfPKPS3_EEvPT1_llT2_lT0_lSA_.num_vgpr, 8
	.set _ZN9rocsolver6v33100L12restore_diagI19rocblas_complex_numIfElfPKPS3_EEvPT1_llT2_lT0_lSA_.num_agpr, 0
	.set _ZN9rocsolver6v33100L12restore_diagI19rocblas_complex_numIfElfPKPS3_EEvPT1_llT2_lT0_lSA_.numbered_sgpr, 16
	.set _ZN9rocsolver6v33100L12restore_diagI19rocblas_complex_numIfElfPKPS3_EEvPT1_llT2_lT0_lSA_.num_named_barrier, 0
	.set _ZN9rocsolver6v33100L12restore_diagI19rocblas_complex_numIfElfPKPS3_EEvPT1_llT2_lT0_lSA_.private_seg_size, 0
	.set _ZN9rocsolver6v33100L12restore_diagI19rocblas_complex_numIfElfPKPS3_EEvPT1_llT2_lT0_lSA_.uses_vcc, 1
	.set _ZN9rocsolver6v33100L12restore_diagI19rocblas_complex_numIfElfPKPS3_EEvPT1_llT2_lT0_lSA_.uses_flat_scratch, 0
	.set _ZN9rocsolver6v33100L12restore_diagI19rocblas_complex_numIfElfPKPS3_EEvPT1_llT2_lT0_lSA_.has_dyn_sized_stack, 0
	.set _ZN9rocsolver6v33100L12restore_diagI19rocblas_complex_numIfElfPKPS3_EEvPT1_llT2_lT0_lSA_.has_recursion, 0
	.set _ZN9rocsolver6v33100L12restore_diagI19rocblas_complex_numIfElfPKPS3_EEvPT1_llT2_lT0_lSA_.has_indirect_call, 0
	.section	.AMDGPU.csdata,"",@progbits
; Kernel info:
; codeLenInByte = 220
; TotalNumSgprs: 22
; NumVgprs: 8
; NumAgprs: 0
; TotalNumVgprs: 8
; ScratchSize: 0
; MemoryBound: 0
; FloatMode: 240
; IeeeMode: 1
; LDSByteSize: 0 bytes/workgroup (compile time only)
; SGPRBlocks: 2
; VGPRBlocks: 0
; NumSGPRsForWavesPerEU: 22
; NumVGPRsForWavesPerEU: 8
; AccumOffset: 8
; Occupancy: 8
; WaveLimiterHint : 1
; COMPUTE_PGM_RSRC2:SCRATCH_EN: 0
; COMPUTE_PGM_RSRC2:USER_SGPR: 2
; COMPUTE_PGM_RSRC2:TRAP_HANDLER: 0
; COMPUTE_PGM_RSRC2:TGID_X_EN: 1
; COMPUTE_PGM_RSRC2:TGID_Y_EN: 1
; COMPUTE_PGM_RSRC2:TGID_Z_EN: 0
; COMPUTE_PGM_RSRC2:TIDIG_COMP_CNT: 1
; COMPUTE_PGM_RSRC3_GFX90A:ACCUM_OFFSET: 1
; COMPUTE_PGM_RSRC3_GFX90A:TG_SPLIT: 0
	.section	.text._ZN9rocsolver6v33100L18geqr2_kernel_smallILi256E19rocblas_complex_numIdEldPKPS3_EEvT1_S7_T3_lS7_lPT2_lPT0_l,"axG",@progbits,_ZN9rocsolver6v33100L18geqr2_kernel_smallILi256E19rocblas_complex_numIdEldPKPS3_EEvT1_S7_T3_lS7_lPT2_lPT0_l,comdat
	.globl	_ZN9rocsolver6v33100L18geqr2_kernel_smallILi256E19rocblas_complex_numIdEldPKPS3_EEvT1_S7_T3_lS7_lPT2_lPT0_l ; -- Begin function _ZN9rocsolver6v33100L18geqr2_kernel_smallILi256E19rocblas_complex_numIdEldPKPS3_EEvT1_S7_T3_lS7_lPT2_lPT0_l
	.p2align	8
	.type	_ZN9rocsolver6v33100L18geqr2_kernel_smallILi256E19rocblas_complex_numIdEldPKPS3_EEvT1_S7_T3_lS7_lPT2_lPT0_l,@function
_ZN9rocsolver6v33100L18geqr2_kernel_smallILi256E19rocblas_complex_numIdEldPKPS3_EEvT1_S7_T3_lS7_lPT2_lPT0_l: ; @_ZN9rocsolver6v33100L18geqr2_kernel_smallILi256E19rocblas_complex_numIdEldPKPS3_EEvT1_S7_T3_lS7_lPT2_lPT0_l
; %bb.0:
	s_load_dwordx8 s[12:19], s[0:1], 0x0
	s_load_dwordx2 s[10:11], s[0:1], 0x20
	s_mov_b32 s4, s3
	s_mov_b32 s5, 0
	s_lshl_b64 s[2:3], s[4:5], 3
	s_waitcnt lgkmcnt(0)
	s_add_u32 s2, s16, s2
	s_addc_u32 s3, s17, s3
	s_load_dwordx2 s[16:17], s[2:3], 0x0
	v_mov_b32_e32 v1, 0
	v_and_b32_e32 v2, 0x7f, v0
	v_mov_b32_e32 v3, v1
	v_cmp_gt_i64_e64 s[8:9], s[12:13], v[2:3]
	v_lshrrev_b32_e32 v4, 7, v0
	v_lshlrev_b32_e32 v6, 4, v2
	s_and_saveexec_b64 s[6:7], s[8:9]
	s_cbranch_execz .LBB64_6
; %bb.1:
	v_and_b32_e32 v7, 0x7f, v0
	v_mul_lo_u32 v8, s12, v4
	v_lshlrev_b32_e32 v7, 4, v7
	v_lshlrev_b32_e32 v8, 4, v8
	v_add3_u32 v16, v7, v8, 0
	v_mul_lo_u32 v9, s11, v4
	v_mul_lo_u32 v8, s10, v4
	s_lshl_b64 s[2:3], s[18:19], 4
	v_lshl_add_u64 v[8:9], v[8:9], 4, s[2:3]
	v_mov_b32_e32 v7, v1
	v_mov_b32_e32 v5, v1
	v_lshl_add_u64 v[8:9], v[8:9], 0, v[6:7]
	v_cmp_gt_i64_e32 vcc, s[14:15], v[4:5]
	s_lshl_b32 s5, s12, 5
	s_waitcnt lgkmcnt(0)
	v_lshl_add_u64 v[8:9], s[16:17], 0, v[8:9]
	s_lshl_b64 s[20:21], s[10:11], 5
	s_mov_b64 s[22:23], 0
	s_mov_b64 s[24:25], 0x80
	;; [unrolled: 1-line block ×3, first 2 shown]
	v_mov_b64_e32 v[10:11], v[2:3]
	s_branch .LBB64_3
.LBB64_2:                               ;   in Loop: Header=BB64_3 Depth=1
	s_or_b64 exec, exec, s[28:29]
	v_lshl_add_u64 v[10:11], v[10:11], 0, s[24:25]
	v_cmp_le_i64_e64 s[2:3], s[12:13], v[10:11]
	v_add_u32_e32 v16, 0x800, v16
	s_or_b64 s[22:23], s[2:3], s[22:23]
	v_lshl_add_u64 v[8:9], v[8:9], 0, s[26:27]
	s_andn2_b64 exec, exec, s[22:23]
	s_cbranch_execz .LBB64_6
.LBB64_3:                               ; =>This Loop Header: Depth=1
                                        ;     Child Loop BB64_5 Depth 2
	s_and_saveexec_b64 s[28:29], vcc
	s_cbranch_execz .LBB64_2
; %bb.4:                                ;   in Loop: Header=BB64_3 Depth=1
	s_mov_b64 s[30:31], 0
	v_mov_b64_e32 v[12:13], v[8:9]
	v_mov_b32_e32 v7, v16
	v_mov_b64_e32 v[14:15], v[4:5]
.LBB64_5:                               ;   Parent Loop BB64_3 Depth=1
                                        ; =>  This Inner Loop Header: Depth=2
	flat_load_dwordx4 v[18:21], v[12:13]
	v_lshl_add_u64 v[14:15], v[14:15], 0, 2
	v_cmp_le_i64_e64 s[2:3], s[14:15], v[14:15]
	v_lshl_add_u64 v[12:13], v[12:13], 0, s[20:21]
	s_or_b64 s[30:31], s[2:3], s[30:31]
	s_waitcnt vmcnt(0) lgkmcnt(0)
	ds_write2_b64 v7, v[18:19], v[20:21] offset1:1
	v_add_u32_e32 v7, s5, v7
	s_andn2_b64 exec, exec, s[30:31]
	s_cbranch_execnz .LBB64_5
	s_branch .LBB64_2
.LBB64_6:
	s_or_b64 exec, exec, s[6:7]
	v_mov_b64_e32 v[8:9], s[12:13]
	v_cmp_lt_i64_e32 vcc, s[14:15], v[8:9]
	s_and_b64 s[2:3], vcc, exec
	s_cselect_b32 s29, s15, s13
	s_cselect_b32 s28, s14, s12
	v_cmp_lt_i64_e64 s[2:3], s[28:29], 1
	s_and_b64 vcc, exec, s[2:3]
	s_waitcnt lgkmcnt(0)
	s_barrier
	s_cbranch_vccnz .LBB64_44
; %bb.7:
	s_load_dwordx8 s[20:27], s[0:1], 0x30
	v_mbcnt_lo_u32_b32 v5, -1, 0
	v_mbcnt_hi_u32_b32 v8, -1, v5
	v_and_b32_e32 v9, 63, v8
	v_cmp_ne_u32_e32 vcc, 63, v9
	s_waitcnt lgkmcnt(0)
	s_mul_i32 s1, s23, s4
	s_mul_hi_u32 s2, s22, s4
	s_mul_i32 s0, s22, s4
	s_add_i32 s1, s2, s1
	s_lshl_b64 s[0:1], s[0:1], 3
	s_mul_i32 s3, s27, s4
	s_mul_hi_u32 s5, s26, s4
	s_add_u32 s33, s20, s0
	s_addc_u32 s46, s21, s1
	s_add_i32 s1, s5, s3
	s_mul_i32 s0, s26, s4
	s_lshl_b64 s[0:1], s[0:1], 4
	v_addc_co_u32_e32 v5, vcc, 0, v8, vcc
	s_add_u32 s47, s24, s0
	s_mul_i32 s0, s14, s12
	v_cmp_gt_u32_e32 vcc, 62, v9
	s_addc_u32 s48, s25, s1
	s_lshl_b32 s1, s0, 4
	v_cndmask_b32_e64 v7, 0, 2, vcc
	v_cmp_gt_u32_e32 vcc, 60, v9
	s_add_i32 s49, s1, 0
	s_lshl_b32 s1, s14, 4
	v_cndmask_b32_e64 v10, 0, 4, vcc
	v_cmp_gt_u32_e32 vcc, 56, v9
	s_add_i32 s50, s49, s1
	v_add_lshl_u32 v22, v10, v8, 2
	v_cndmask_b32_e64 v10, 0, 8, vcc
	v_cmp_gt_u32_e32 vcc, 48, v9
	s_cmp_eq_u64 s[20:21], 0
	s_cselect_b64 s[24:25], -1, 0
	v_cndmask_b32_e64 v9, 0, 16, vcc
	v_add_lshl_u32 v24, v9, v8, 2
	v_mov_b32_e32 v9, 0x80
	s_cmp_lg_u64 s[20:21], 0
	v_add_lshl_u32 v7, v7, v8, 2
	v_add_lshl_u32 v23, v10, v8, 2
	v_lshl_or_b32 v25, v8, 2, v9
	v_and_b32_e32 v8, 63, v0
	s_cselect_b64 s[20:21], -1, 0
	s_lshl_b32 s51, s12, 4
	v_mul_lo_u32 v10, s12, v0
	v_cmp_eq_u32_e64 s[2:3], 0, v8
	v_lshrrev_b32_e32 v8, 2, v0
	v_lshlrev_b32_e32 v9, 4, v0
	v_add_u32_e32 v10, s12, v10
	s_add_i32 s1, s51, 0
	s_mov_b32 s30, 0
	s_mov_b32 s0, 0
	v_lshlrev_b32_e32 v5, 2, v5
	v_cmp_eq_u32_e64 s[4:5], 0, v0
	s_mov_b64 s[22:23], 0
	v_add3_u32 v26, v9, 0, 16
	s_add_i32 s52, s51, 16
	v_lshl_add_u32 v27, v10, 4, 0
	s_lshl_b32 s53, s12, 12
	v_add_u32_e32 v28, s1, v9
	s_mov_b64 s[26:27], 0x100
	v_add_u32_e32 v29, s50, v8
	s_brev_b32 s31, 8
	v_mov_b32_e32 v30, 0x260
	v_mov_b32_e32 v8, 0
	;; [unrolled: 1-line block ×4, first 2 shown]
	s_mov_b32 s54, 0
	s_branch .LBB64_9
.LBB64_8:                               ;   in Loop: Header=BB64_9 Depth=1
	s_or_b64 exec, exec, s[36:37]
	s_add_u32 s22, s22, 1
	s_addc_u32 s23, s23, 0
	v_mov_b64_e32 v[10:11], s[22:23]
	v_cmp_le_i64_e32 vcc, s[28:29], v[10:11]
	v_add_u32_e32 v26, s52, v26
	s_add_i32 s54, s54, s52
	v_add_u32_e32 v27, s52, v27
	v_add_u32_e32 v28, s52, v28
	s_waitcnt lgkmcnt(0)
	s_barrier
	s_cbranch_vccnz .LBB64_44
.LBB64_9:                               ; =>This Loop Header: Depth=1
                                        ;     Child Loop BB64_11 Depth 2
                                        ;     Child Loop BB64_28 Depth 2
	;; [unrolled: 1-line block ×3, first 2 shown]
                                        ;       Child Loop BB64_35 Depth 3
                                        ;     Child Loop BB64_39 Depth 2
                                        ;       Child Loop BB64_41 Depth 3
	s_sub_u32 s34, s12, s22
	s_subb_u32 s35, s13, s23
	s_add_u32 s36, s34, -1
	s_addc_u32 s37, s35, -1
	v_cmp_gt_i64_e64 s[6:7], s[36:37], v[0:1]
	v_mov_b64_e32 v[10:11], 0
	v_mov_b64_e32 v[12:13], 0
	s_and_saveexec_b64 s[38:39], s[6:7]
	s_cbranch_execz .LBB64_13
; %bb.10:                               ;   in Loop: Header=BB64_9 Depth=1
	v_mov_b64_e32 v[10:11], 0
	s_mov_b64 s[40:41], 0
	v_mov_b32_e32 v9, v26
	v_mov_b64_e32 v[14:15], v[0:1]
	v_mov_b64_e32 v[12:13], 0
.LBB64_11:                              ;   Parent Loop BB64_9 Depth=1
                                        ; =>  This Inner Loop Header: Depth=2
	ds_read2_b64 v[16:19], v9 offset1:1
	v_lshl_add_u64 v[14:15], v[14:15], 0, s[26:27]
	v_cmp_le_i64_e32 vcc, s[36:37], v[14:15]
	v_add_u32_e32 v9, 0x1000, v9
	s_or_b64 s[40:41], vcc, s[40:41]
	s_waitcnt lgkmcnt(0)
	v_mul_f64 v[20:21], v[18:19], v[18:19]
	v_mul_f64 v[34:35], v[16:17], v[18:19]
	v_fmac_f64_e32 v[20:21], v[16:17], v[16:17]
	v_fma_f64 v[16:17], v[16:17], v[18:19], -v[34:35]
	v_add_f64 v[12:13], v[12:13], v[20:21]
	v_add_f64 v[10:11], v[10:11], v[16:17]
	s_andn2_b64 exec, exec, s[40:41]
	s_cbranch_execnz .LBB64_11
; %bb.12:                               ;   in Loop: Header=BB64_9 Depth=1
	s_or_b64 exec, exec, s[40:41]
.LBB64_13:                              ;   in Loop: Header=BB64_9 Depth=1
	s_or_b64 exec, exec, s[38:39]
	ds_bpermute_b32 v14, v5, v12
	ds_bpermute_b32 v15, v5, v13
	;; [unrolled: 1-line block ×4, first 2 shown]
	s_waitcnt lgkmcnt(2)
	v_add_f64 v[12:13], v[12:13], v[14:15]
	ds_bpermute_b32 v14, v7, v12
	s_waitcnt lgkmcnt(1)
	v_add_f64 v[10:11], v[10:11], v[16:17]
	ds_bpermute_b32 v15, v7, v13
	ds_bpermute_b32 v16, v7, v10
	ds_bpermute_b32 v17, v7, v11
	s_waitcnt lgkmcnt(2)
	v_add_f64 v[12:13], v[12:13], v[14:15]
	ds_bpermute_b32 v14, v22, v12
	s_waitcnt lgkmcnt(1)
	v_add_f64 v[10:11], v[10:11], v[16:17]
	ds_bpermute_b32 v15, v22, v13
	ds_bpermute_b32 v16, v22, v10
	ds_bpermute_b32 v17, v22, v11
	;; [unrolled: 8-line block ×4, first 2 shown]
	s_waitcnt lgkmcnt(2)
	v_add_f64 v[18:19], v[12:13], v[14:15]
	s_waitcnt lgkmcnt(0)
	v_add_f64 v[12:13], v[10:11], v[16:17]
	ds_bpermute_b32 v10, v25, v18
	ds_bpermute_b32 v11, v25, v19
	;; [unrolled: 1-line block ×4, first 2 shown]
	s_waitcnt lgkmcnt(2)
	v_add_f64 v[10:11], v[18:19], v[10:11]
	s_and_saveexec_b64 s[38:39], s[2:3]
	s_cbranch_execz .LBB64_15
; %bb.14:                               ;   in Loop: Header=BB64_9 Depth=1
	s_waitcnt lgkmcnt(0)
	v_add_f64 v[12:13], v[12:13], v[14:15]
	ds_write2_b64 v29, v[10:11], v[12:13] offset0:2 offset1:3
.LBB64_15:                              ;   in Loop: Header=BB64_9 Depth=1
	s_or_b64 exec, exec, s[38:39]
	s_lshl_b32 s1, s22, 4
	s_add_i32 s55, s1, 0
	s_mul_i32 s1, s22, s12
	s_lshl_b32 s1, s1, 4
	s_add_i32 s55, s55, s1
	s_waitcnt lgkmcnt(0)
	s_barrier
	s_and_saveexec_b64 s[38:39], s[4:5]
	s_cbranch_execz .LBB64_26
; %bb.16:                               ;   in Loop: Header=BB64_9 Depth=1
	v_mov_b32_e32 v9, s50
	ds_read2_b64 v[18:21], v9 offset0:4 offset1:6
	v_mov_b32_e32 v12, s55
	ds_read_b64 v[14:15], v12 offset:8
	ds_read_b64 v[12:13], v9 offset:64
	s_mov_b64 s[44:45], 0
	s_mov_b64 s[40:41], 0
	s_waitcnt lgkmcnt(2)
	v_add_f64 v[10:11], v[10:11], v[18:19]
	v_add_f64 v[10:11], v[10:11], v[20:21]
	s_waitcnt lgkmcnt(1)
	v_mul_f64 v[18:19], v[14:15], v[14:15]
	s_waitcnt lgkmcnt(0)
	v_add_f64 v[20:21], v[10:11], v[12:13]
	v_max_f64 v[10:11], v[20:21], v[18:19]
	v_cmp_nlt_f64_e32 vcc, 0, v[10:11]
	s_and_saveexec_b64 s[42:43], vcc
	s_xor_b64 s[42:43], exec, s[42:43]
                                        ; implicit-def: $vgpr10_vgpr11
	s_cbranch_execz .LBB64_21
; %bb.17:                               ;   in Loop: Header=BB64_9 Depth=1
	s_mov_b32 s1, s0
	s_mov_b32 s40, s0
	;; [unrolled: 1-line block ×3, first 2 shown]
	v_mov_b32_e32 v9, s50
	v_mov_b64_e32 v[10:11], s[0:1]
	v_mov_b64_e32 v[12:13], s[40:41]
	s_and_b64 vcc, exec, s[20:21]
	ds_write2_b64 v9, v[10:11], v[12:13] offset1:1
	s_cbranch_vccz .LBB64_19
; %bb.18:                               ;   in Loop: Header=BB64_9 Depth=1
	v_mov_b32_e32 v9, s55
	ds_read_b64 v[10:11], v9
	s_mov_b64 s[40:41], -1
	s_branch .LBB64_20
.LBB64_19:                              ;   in Loop: Header=BB64_9 Depth=1
	s_mov_b64 s[40:41], 0
                                        ; implicit-def: $vgpr10_vgpr11
.LBB64_20:                              ;   in Loop: Header=BB64_9 Depth=1
	s_and_b64 s[40:41], s[40:41], exec
                                        ; implicit-def: $vgpr18_vgpr19
                                        ; implicit-def: $vgpr20_vgpr21
                                        ; implicit-def: $vgpr14_vgpr15
.LBB64_21:                              ;   in Loop: Header=BB64_9 Depth=1
	s_or_saveexec_b64 s[42:43], s[42:43]
	v_mov_b64_e32 v[12:13], 1.0
	v_mov_b64_e32 v[16:17], 0
	s_xor_b64 exec, exec, s[42:43]
	s_cbranch_execnz .LBB64_42
; %bb.22:                               ;   in Loop: Header=BB64_9 Depth=1
	s_or_b64 exec, exec, s[42:43]
	s_and_saveexec_b64 s[42:43], s[40:41]
	s_cbranch_execnz .LBB64_43
.LBB64_23:                              ;   in Loop: Header=BB64_9 Depth=1
	s_or_b64 exec, exec, s[42:43]
	v_mov_b64_e32 v[14:15], 0
	s_and_saveexec_b64 s[40:41], s[44:45]
	s_cbranch_execz .LBB64_25
.LBB64_24:                              ;   in Loop: Header=BB64_9 Depth=1
	v_mov_b32_e32 v9, v8
	v_mov_b32_e32 v14, s55
	s_waitcnt lgkmcnt(0)
	ds_write2_b64 v14, v[10:11], v[8:9] offset1:1
	v_mov_b32_e32 v9, s50
	ds_read_b64 v[14:15], v9 offset:8
.LBB64_25:                              ;   in Loop: Header=BB64_9 Depth=1
	s_or_b64 exec, exec, s[40:41]
	v_mov_b32_e32 v9, s50
	ds_read2_b64 v[18:21], v9 offset1:1
	s_lshl_b64 s[40:41], s[22:23], 4
	s_add_u32 s40, s47, s40
	s_addc_u32 s41, s48, s41
	s_waitcnt lgkmcnt(1)
	v_xor_b32_e32 v15, 0x80000000, v15
	ds_write_b64 v9, v[16:17] offset:24
	s_waitcnt lgkmcnt(1)
	global_store_dwordx4 v8, v[18:21], s[40:41]
	ds_write2_b64 v9, v[14:15], v[12:13] offset0:1 offset1:2
.LBB64_26:                              ;   in Loop: Header=BB64_9 Depth=1
	s_or_b64 exec, exec, s[38:39]
	s_waitcnt lgkmcnt(0)
	s_barrier
	s_and_saveexec_b64 s[38:39], s[6:7]
	s_cbranch_execz .LBB64_29
; %bb.27:                               ;   in Loop: Header=BB64_9 Depth=1
	s_mov_b32 s1, 0
	s_mov_b64 s[6:7], 0
	v_mov_b64_e32 v[10:11], v[0:1]
.LBB64_28:                              ;   Parent Loop BB64_9 Depth=1
                                        ; =>  This Inner Loop Header: Depth=2
	v_mov_b32_e32 v12, s50
	v_add_u32_e32 v9, s1, v26
	ds_read2_b64 v[12:15], v12 offset0:2 offset1:3
	ds_read2_b64 v[16:19], v9 offset1:1
	v_lshl_add_u64 v[10:11], v[10:11], 0, s[26:27]
	s_addk_i32 s1, 0x1000
	v_cmp_le_i64_e32 vcc, s[36:37], v[10:11]
	s_or_b64 s[6:7], vcc, s[6:7]
	s_waitcnt lgkmcnt(0)
	v_mul_f64 v[20:21], v[14:15], v[18:19]
	v_mul_f64 v[18:19], v[12:13], v[18:19]
	v_fma_f64 v[12:13], v[12:13], v[16:17], -v[20:21]
	v_fmac_f64_e32 v[18:19], v[14:15], v[16:17]
	ds_write2_b64 v9, v[12:13], v[18:19] offset1:1
	s_andn2_b64 exec, exec, s[6:7]
	s_cbranch_execnz .LBB64_28
.LBB64_29:                              ;   in Loop: Header=BB64_9 Depth=1
	s_or_b64 exec, exec, s[38:39]
	s_not_b64 s[6:7], s[22:23]
	s_add_u32 s6, s14, s6
	s_addc_u32 s7, s15, s7
	v_cmp_gt_i64_e32 vcc, s[6:7], v[0:1]
	s_waitcnt lgkmcnt(0)
	s_barrier
	s_and_saveexec_b64 s[36:37], vcc
	s_cbranch_execz .LBB64_36
; %bb.30:                               ;   in Loop: Header=BB64_9 Depth=1
	s_mov_b64 s[38:39], 0
	v_cmp_gt_i64_e64 s[40:41], s[34:35], 0
	v_mov_b32_e32 v9, v27
	v_mov_b64_e32 v[10:11], v[0:1]
	s_branch .LBB64_33
.LBB64_31:                              ;   in Loop: Header=BB64_33 Depth=2
	v_mov_b64_e32 v[14:15], 0
.LBB64_32:                              ;   in Loop: Header=BB64_33 Depth=2
	v_mov_b32_e32 v16, s50
	ds_read2_b64 v[16:19], v16 offset1:1
	v_lshl_add_u32 v33, v10, 4, s49
	v_lshl_add_u64 v[10:11], v[10:11], 0, s[26:27]
	v_cmp_le_i64_e32 vcc, s[6:7], v[10:11]
	s_or_b64 s[38:39], vcc, s[38:39]
	s_waitcnt lgkmcnt(0)
	v_mul_f64 v[20:21], v[12:13], v[18:19]
	v_mul_f64 v[18:19], v[14:15], v[18:19]
	v_fma_f64 v[14:15], v[14:15], v[16:17], -v[20:21]
	v_fmac_f64_e32 v[18:19], v[12:13], v[16:17]
	v_add_u32_e32 v9, s53, v9
	ds_write2_b64 v33, v[14:15], v[18:19] offset1:1
	s_andn2_b64 exec, exec, s[38:39]
	s_cbranch_execz .LBB64_36
.LBB64_33:                              ;   Parent Loop BB64_9 Depth=1
                                        ; =>  This Loop Header: Depth=2
                                        ;       Child Loop BB64_35 Depth 3
	v_mov_b64_e32 v[12:13], 0
	s_andn2_b64 vcc, exec, s[40:41]
	s_cbranch_vccnz .LBB64_31
; %bb.34:                               ;   in Loop: Header=BB64_33 Depth=2
	s_mov_b64 s[42:43], 0
	v_mov_b32_e32 v16, v9
	s_mov_b32 s1, s54
	v_mov_b64_e32 v[14:15], 0
.LBB64_35:                              ;   Parent Loop BB64_9 Depth=1
                                        ;     Parent Loop BB64_33 Depth=2
                                        ; =>    This Inner Loop Header: Depth=3
	v_mov_b32_e32 v17, s1
	ds_read2_b64 v[18:21], v16 offset1:1
	ds_read2_b64 v[34:37], v17 offset1:1
	s_add_u32 s42, s42, 1
	v_mov_b64_e32 v[38:39], s[34:35]
	s_addc_u32 s43, s43, 0
	v_cmp_ge_i64_e32 vcc, s[42:43], v[38:39]
	s_waitcnt lgkmcnt(0)
	v_mul_f64 v[38:39], v[36:37], v[20:21]
	v_mul_f64 v[36:37], v[36:37], v[18:19]
	v_fmac_f64_e32 v[38:39], v[34:35], v[18:19]
	v_fma_f64 v[18:19], v[34:35], v[20:21], -v[36:37]
	v_add_u32_e32 v16, 16, v16
	s_add_i32 s1, s1, 16
	v_add_f64 v[14:15], v[14:15], v[38:39]
	v_add_f64 v[12:13], v[12:13], v[18:19]
	s_cbranch_vccz .LBB64_35
	s_branch .LBB64_32
.LBB64_36:                              ;   in Loop: Header=BB64_9 Depth=1
	s_or_b64 exec, exec, s[36:37]
	v_cmp_gt_i64_e32 vcc, s[34:35], v[0:1]
	s_waitcnt lgkmcnt(0)
	s_barrier
	s_and_saveexec_b64 s[36:37], vcc
	s_cbranch_execz .LBB64_8
; %bb.37:                               ;   in Loop: Header=BB64_9 Depth=1
	s_mov_b64 s[38:39], 0
	v_cmp_gt_i64_e64 s[40:41], s[6:7], 0
	v_mov_b32_e32 v9, v28
	v_mov_b64_e32 v[10:11], v[0:1]
	s_branch .LBB64_39
.LBB64_38:                              ;   in Loop: Header=BB64_39 Depth=2
	v_lshl_add_u64 v[10:11], v[10:11], 0, s[26:27]
	v_cmp_le_i64_e32 vcc, s[34:35], v[10:11]
	s_or_b64 s[38:39], vcc, s[38:39]
	v_add_u32_e32 v9, 0x1000, v9
	s_andn2_b64 exec, exec, s[38:39]
	s_cbranch_execz .LBB64_8
.LBB64_39:                              ;   Parent Loop BB64_9 Depth=1
                                        ; =>  This Loop Header: Depth=2
                                        ;       Child Loop BB64_41 Depth 3
	s_andn2_b64 vcc, exec, s[40:41]
	s_cbranch_vccnz .LBB64_38
; %bb.40:                               ;   in Loop: Header=BB64_39 Depth=2
	v_lshl_add_u32 v12, v10, 4, s55
	s_mov_b64 s[42:43], 0
	s_mov_b32 s1, s49
	v_mov_b32_e32 v13, v9
.LBB64_41:                              ;   Parent Loop BB64_9 Depth=1
                                        ;     Parent Loop BB64_39 Depth=2
                                        ; =>    This Inner Loop Header: Depth=3
	v_mov_b32_e32 v33, s1
	ds_read2_b64 v[14:17], v12 offset1:1
	ds_read2_b64 v[18:21], v13 offset1:1
	;; [unrolled: 1-line block ×3, first 2 shown]
	s_add_u32 s42, s42, 1
	v_mov_b64_e32 v[38:39], s[6:7]
	s_addc_u32 s43, s43, 0
	v_cmp_ge_i64_e32 vcc, s[42:43], v[38:39]
	s_waitcnt lgkmcnt(0)
	v_mul_f64 v[38:39], v[36:37], v[16:17]
	v_mul_f64 v[16:17], v[34:35], v[16:17]
	v_fma_f64 v[34:35], v[34:35], v[14:15], -v[38:39]
	v_fmac_f64_e32 v[16:17], v[36:37], v[14:15]
	v_add_f64 v[14:15], v[18:19], -v[34:35]
	v_add_f64 v[16:17], v[20:21], -v[16:17]
	s_add_i32 s1, s1, 16
	ds_write2_b64 v13, v[14:15], v[16:17] offset1:1
	v_add_u32_e32 v13, s51, v13
	s_cbranch_vccz .LBB64_41
	s_branch .LBB64_38
.LBB64_42:                              ;   in Loop: Header=BB64_9 Depth=1
	v_mov_b32_e32 v9, s55
	ds_read_b64 v[16:17], v9
	s_andn2_b64 s[40:41], s[40:41], exec
	s_and_b64 s[56:57], s[20:21], exec
	s_or_b64 s[40:41], s[40:41], s[56:57]
	s_waitcnt lgkmcnt(0)
	v_fma_f64 v[10:11], v[16:17], v[16:17], v[18:19]
	v_add_f64 v[10:11], v[20:21], v[10:11]
	v_cmp_gt_f64_e32 vcc, s[30:31], v[10:11]
	s_nop 1
	v_cndmask_b32_e32 v9, 0, v31, vcc
	v_ldexp_f64 v[10:11], v[10:11], v9
	v_rsq_f64_e32 v[12:13], v[10:11]
	v_cndmask_b32_e32 v9, 0, v32, vcc
	v_cmp_class_f64_e32 vcc, v[10:11], v30
	v_mul_f64 v[20:21], v[10:11], v[12:13]
	v_mul_f64 v[12:13], v[12:13], 0.5
	v_fma_f64 v[34:35], -v[12:13], v[20:21], 0.5
	v_fmac_f64_e32 v[20:21], v[20:21], v[34:35]
	v_fmac_f64_e32 v[12:13], v[12:13], v[34:35]
	v_fma_f64 v[34:35], -v[20:21], v[20:21], v[10:11]
	v_fmac_f64_e32 v[20:21], v[34:35], v[12:13]
	v_fma_f64 v[34:35], -v[20:21], v[20:21], v[10:11]
	v_fmac_f64_e32 v[20:21], v[34:35], v[12:13]
	v_ldexp_f64 v[12:13], v[20:21], v9
	v_cndmask_b32_e32 v9, v13, v11, vcc
	v_cndmask_b32_e32 v10, v12, v10, vcc
	v_xor_b32_e32 v11, 0x80000000, v9
	v_cmp_le_f64_e32 vcc, 0, v[16:17]
	s_nop 1
	v_cndmask_b32_e32 v11, v9, v11, vcc
	v_add_f64 v[12:13], v[16:17], -v[10:11]
	v_fmac_f64_e32 v[18:19], v[12:13], v[12:13]
	v_div_scale_f64 v[20:21], s[44:45], v[18:19], v[18:19], v[12:13]
	v_rcp_f64_e32 v[34:35], v[20:21]
	v_div_scale_f64 v[36:37], vcc, v[12:13], v[18:19], v[12:13]
	v_mov_b32_e32 v9, s50
	v_fma_f64 v[38:39], -v[20:21], v[34:35], 1.0
	v_fmac_f64_e32 v[34:35], v[34:35], v[38:39]
	v_fma_f64 v[38:39], -v[20:21], v[34:35], 1.0
	v_fmac_f64_e32 v[34:35], v[34:35], v[38:39]
	v_mul_f64 v[38:39], v[36:37], v[34:35]
	v_fma_f64 v[20:21], -v[20:21], v[38:39], v[36:37]
	v_div_scale_f64 v[36:37], s[44:45], v[18:19], v[18:19], -v[14:15]
	v_rcp_f64_e32 v[40:41], v[36:37]
	v_div_fmas_f64 v[20:21], v[20:21], v[34:35], v[38:39]
	v_div_fixup_f64 v[12:13], v[20:21], v[18:19], v[12:13]
	v_fma_f64 v[20:21], -v[36:37], v[40:41], 1.0
	v_fmac_f64_e32 v[40:41], v[40:41], v[20:21]
	v_fma_f64 v[20:21], -v[36:37], v[40:41], 1.0
	v_fmac_f64_e32 v[40:41], v[40:41], v[20:21]
	v_div_scale_f64 v[20:21], vcc, -v[14:15], v[18:19], -v[14:15]
	v_mul_f64 v[34:35], v[20:21], v[40:41]
	v_fma_f64 v[20:21], -v[36:37], v[34:35], v[20:21]
	v_add_f64 v[36:37], v[10:11], -v[16:17]
	v_div_scale_f64 v[38:39], s[44:45], v[10:11], v[10:11], v[36:37]
	v_rcp_f64_e32 v[42:43], v[38:39]
	v_div_fmas_f64 v[16:17], v[20:21], v[40:41], v[34:35]
	v_div_fixup_f64 v[16:17], v[16:17], v[18:19], -v[14:15]
	v_div_scale_f64 v[34:35], s[44:45], v[10:11], v[10:11], -v[14:15]
	v_fma_f64 v[18:19], -v[38:39], v[42:43], 1.0
	v_fmac_f64_e32 v[42:43], v[42:43], v[18:19]
	v_fma_f64 v[18:19], -v[38:39], v[42:43], 1.0
	v_fmac_f64_e32 v[42:43], v[42:43], v[18:19]
	v_div_scale_f64 v[18:19], vcc, v[36:37], v[10:11], v[36:37]
	v_mul_f64 v[20:21], v[18:19], v[42:43]
	v_fma_f64 v[18:19], -v[38:39], v[20:21], v[18:19]
	v_rcp_f64_e32 v[38:39], v[34:35]
	s_nop 0
	v_div_fmas_f64 v[18:19], v[18:19], v[42:43], v[20:21]
	v_div_fixup_f64 v[18:19], v[18:19], v[10:11], v[36:37]
	s_and_b64 s[44:45], s[24:25], exec
	v_fma_f64 v[20:21], -v[34:35], v[38:39], 1.0
	v_fmac_f64_e32 v[38:39], v[38:39], v[20:21]
	v_fma_f64 v[20:21], -v[34:35], v[38:39], 1.0
	v_fmac_f64_e32 v[38:39], v[38:39], v[20:21]
	v_div_scale_f64 v[20:21], vcc, -v[14:15], v[10:11], -v[14:15]
	v_mul_f64 v[36:37], v[20:21], v[38:39]
	v_fma_f64 v[20:21], -v[34:35], v[36:37], v[20:21]
	s_nop 1
	v_div_fmas_f64 v[20:21], v[20:21], v[38:39], v[36:37]
	v_div_fixup_f64 v[14:15], v[20:21], v[10:11], -v[14:15]
	ds_write2_b64 v9, v[18:19], v[14:15] offset1:1
	s_or_b64 exec, exec, s[42:43]
	s_and_saveexec_b64 s[42:43], s[40:41]
	s_cbranch_execz .LBB64_23
.LBB64_43:                              ;   in Loop: Header=BB64_9 Depth=1
	s_lshl_b64 s[40:41], s[22:23], 3
	s_add_u32 s40, s33, s40
	s_addc_u32 s41, s46, s41
	s_waitcnt lgkmcnt(0)
	global_store_dwordx2 v8, v[10:11], s[40:41]
	v_mov_b64_e32 v[10:11], 1.0
	s_or_b64 s[44:45], s[44:45], exec
	s_or_b64 exec, exec, s[42:43]
	v_mov_b64_e32 v[14:15], 0
	s_and_saveexec_b64 s[40:41], s[44:45]
	s_cbranch_execnz .LBB64_24
	s_branch .LBB64_25
.LBB64_44:
	s_and_saveexec_b64 s[0:1], s[8:9]
	s_cbranch_execz .LBB64_50
; %bb.45:
	v_mov_b32_e32 v5, 0
	v_mul_lo_u32 v9, s11, v4
	v_mul_lo_u32 v8, s10, v4
	s_lshl_b64 s[0:1], s[18:19], 4
	v_lshl_add_u64 v[8:9], v[8:9], 4, s[0:1]
	v_mov_b32_e32 v7, v5
	v_and_b32_e32 v0, 0x7f, v0
	v_mul_lo_u32 v1, s12, v4
	v_lshl_add_u64 v[6:7], v[8:9], 0, v[6:7]
	v_lshlrev_b32_e32 v0, 4, v0
	v_lshlrev_b32_e32 v1, 4, v1
	v_cmp_gt_i64_e32 vcc, s[14:15], v[4:5]
	v_lshl_add_u64 v[6:7], s[16:17], 0, v[6:7]
	s_lshl_b64 s[2:3], s[10:11], 5
	v_add3_u32 v10, v0, v1, 0
	s_lshl_b32 s18, s12, 5
	s_mov_b64 s[4:5], 0
	s_mov_b64 s[6:7], 0x80
	;; [unrolled: 1-line block ×3, first 2 shown]
	s_branch .LBB64_47
.LBB64_46:                              ;   in Loop: Header=BB64_47 Depth=1
	s_or_b64 exec, exec, s[10:11]
	v_lshl_add_u64 v[2:3], v[2:3], 0, s[6:7]
	v_cmp_le_i64_e64 s[0:1], s[12:13], v[2:3]
	v_lshl_add_u64 v[6:7], v[6:7], 0, s[8:9]
	s_or_b64 s[4:5], s[0:1], s[4:5]
	v_add_u32_e32 v10, 0x800, v10
	s_andn2_b64 exec, exec, s[4:5]
	s_cbranch_execz .LBB64_50
.LBB64_47:                              ; =>This Loop Header: Depth=1
                                        ;     Child Loop BB64_49 Depth 2
	s_and_saveexec_b64 s[10:11], vcc
	s_cbranch_execz .LBB64_46
; %bb.48:                               ;   in Loop: Header=BB64_47 Depth=1
	s_mov_b64 s[16:17], 0
	v_mov_b32_e32 v11, v10
	v_mov_b64_e32 v[0:1], v[6:7]
	v_mov_b64_e32 v[8:9], v[4:5]
.LBB64_49:                              ;   Parent Loop BB64_47 Depth=1
                                        ; =>  This Inner Loop Header: Depth=2
	ds_read2_b64 v[12:15], v11 offset1:1
	v_lshl_add_u64 v[8:9], v[8:9], 0, 2
	v_cmp_le_i64_e64 s[0:1], s[14:15], v[8:9]
	v_add_u32_e32 v11, s18, v11
	s_or_b64 s[16:17], s[0:1], s[16:17]
	s_waitcnt lgkmcnt(0)
	flat_store_dwordx4 v[0:1], v[12:15]
	v_lshl_add_u64 v[0:1], v[0:1], 0, s[2:3]
	s_andn2_b64 exec, exec, s[16:17]
	s_cbranch_execnz .LBB64_49
	s_branch .LBB64_46
.LBB64_50:
	s_endpgm
	.section	.rodata,"a",@progbits
	.p2align	6, 0x0
	.amdhsa_kernel _ZN9rocsolver6v33100L18geqr2_kernel_smallILi256E19rocblas_complex_numIdEldPKPS3_EEvT1_S7_T3_lS7_lPT2_lPT0_l
		.amdhsa_group_segment_fixed_size 0
		.amdhsa_private_segment_fixed_size 0
		.amdhsa_kernarg_size 80
		.amdhsa_user_sgpr_count 2
		.amdhsa_user_sgpr_dispatch_ptr 0
		.amdhsa_user_sgpr_queue_ptr 0
		.amdhsa_user_sgpr_kernarg_segment_ptr 1
		.amdhsa_user_sgpr_dispatch_id 0
		.amdhsa_user_sgpr_kernarg_preload_length 0
		.amdhsa_user_sgpr_kernarg_preload_offset 0
		.amdhsa_user_sgpr_private_segment_size 0
		.amdhsa_uses_dynamic_stack 0
		.amdhsa_enable_private_segment 0
		.amdhsa_system_sgpr_workgroup_id_x 1
		.amdhsa_system_sgpr_workgroup_id_y 0
		.amdhsa_system_sgpr_workgroup_id_z 1
		.amdhsa_system_sgpr_workgroup_info 0
		.amdhsa_system_vgpr_workitem_id 0
		.amdhsa_next_free_vgpr 44
		.amdhsa_next_free_sgpr 58
		.amdhsa_accum_offset 44
		.amdhsa_reserve_vcc 1
		.amdhsa_float_round_mode_32 0
		.amdhsa_float_round_mode_16_64 0
		.amdhsa_float_denorm_mode_32 3
		.amdhsa_float_denorm_mode_16_64 3
		.amdhsa_dx10_clamp 1
		.amdhsa_ieee_mode 1
		.amdhsa_fp16_overflow 0
		.amdhsa_tg_split 0
		.amdhsa_exception_fp_ieee_invalid_op 0
		.amdhsa_exception_fp_denorm_src 0
		.amdhsa_exception_fp_ieee_div_zero 0
		.amdhsa_exception_fp_ieee_overflow 0
		.amdhsa_exception_fp_ieee_underflow 0
		.amdhsa_exception_fp_ieee_inexact 0
		.amdhsa_exception_int_div_zero 0
	.end_amdhsa_kernel
	.section	.text._ZN9rocsolver6v33100L18geqr2_kernel_smallILi256E19rocblas_complex_numIdEldPKPS3_EEvT1_S7_T3_lS7_lPT2_lPT0_l,"axG",@progbits,_ZN9rocsolver6v33100L18geqr2_kernel_smallILi256E19rocblas_complex_numIdEldPKPS3_EEvT1_S7_T3_lS7_lPT2_lPT0_l,comdat
.Lfunc_end64:
	.size	_ZN9rocsolver6v33100L18geqr2_kernel_smallILi256E19rocblas_complex_numIdEldPKPS3_EEvT1_S7_T3_lS7_lPT2_lPT0_l, .Lfunc_end64-_ZN9rocsolver6v33100L18geqr2_kernel_smallILi256E19rocblas_complex_numIdEldPKPS3_EEvT1_S7_T3_lS7_lPT2_lPT0_l
                                        ; -- End function
	.set _ZN9rocsolver6v33100L18geqr2_kernel_smallILi256E19rocblas_complex_numIdEldPKPS3_EEvT1_S7_T3_lS7_lPT2_lPT0_l.num_vgpr, 44
	.set _ZN9rocsolver6v33100L18geqr2_kernel_smallILi256E19rocblas_complex_numIdEldPKPS3_EEvT1_S7_T3_lS7_lPT2_lPT0_l.num_agpr, 0
	.set _ZN9rocsolver6v33100L18geqr2_kernel_smallILi256E19rocblas_complex_numIdEldPKPS3_EEvT1_S7_T3_lS7_lPT2_lPT0_l.numbered_sgpr, 58
	.set _ZN9rocsolver6v33100L18geqr2_kernel_smallILi256E19rocblas_complex_numIdEldPKPS3_EEvT1_S7_T3_lS7_lPT2_lPT0_l.num_named_barrier, 0
	.set _ZN9rocsolver6v33100L18geqr2_kernel_smallILi256E19rocblas_complex_numIdEldPKPS3_EEvT1_S7_T3_lS7_lPT2_lPT0_l.private_seg_size, 0
	.set _ZN9rocsolver6v33100L18geqr2_kernel_smallILi256E19rocblas_complex_numIdEldPKPS3_EEvT1_S7_T3_lS7_lPT2_lPT0_l.uses_vcc, 1
	.set _ZN9rocsolver6v33100L18geqr2_kernel_smallILi256E19rocblas_complex_numIdEldPKPS3_EEvT1_S7_T3_lS7_lPT2_lPT0_l.uses_flat_scratch, 0
	.set _ZN9rocsolver6v33100L18geqr2_kernel_smallILi256E19rocblas_complex_numIdEldPKPS3_EEvT1_S7_T3_lS7_lPT2_lPT0_l.has_dyn_sized_stack, 0
	.set _ZN9rocsolver6v33100L18geqr2_kernel_smallILi256E19rocblas_complex_numIdEldPKPS3_EEvT1_S7_T3_lS7_lPT2_lPT0_l.has_recursion, 0
	.set _ZN9rocsolver6v33100L18geqr2_kernel_smallILi256E19rocblas_complex_numIdEldPKPS3_EEvT1_S7_T3_lS7_lPT2_lPT0_l.has_indirect_call, 0
	.section	.AMDGPU.csdata,"",@progbits
; Kernel info:
; codeLenInByte = 3168
; TotalNumSgprs: 64
; NumVgprs: 44
; NumAgprs: 0
; TotalNumVgprs: 44
; ScratchSize: 0
; MemoryBound: 0
; FloatMode: 240
; IeeeMode: 1
; LDSByteSize: 0 bytes/workgroup (compile time only)
; SGPRBlocks: 7
; VGPRBlocks: 5
; NumSGPRsForWavesPerEU: 64
; NumVGPRsForWavesPerEU: 44
; AccumOffset: 44
; Occupancy: 8
; WaveLimiterHint : 0
; COMPUTE_PGM_RSRC2:SCRATCH_EN: 0
; COMPUTE_PGM_RSRC2:USER_SGPR: 2
; COMPUTE_PGM_RSRC2:TRAP_HANDLER: 0
; COMPUTE_PGM_RSRC2:TGID_X_EN: 1
; COMPUTE_PGM_RSRC2:TGID_Y_EN: 0
; COMPUTE_PGM_RSRC2:TGID_Z_EN: 1
; COMPUTE_PGM_RSRC2:TIDIG_COMP_CNT: 0
; COMPUTE_PGM_RSRC3_GFX90A:ACCUM_OFFSET: 10
; COMPUTE_PGM_RSRC3_GFX90A:TG_SPLIT: 0
	.section	.text._ZN9rocsolver6v33100L8set_diagI19rocblas_complex_numIdEldPKPS3_TnNSt9enable_ifIXaa18rocblas_is_complexIT_Ent18rocblas_is_complexIT1_EEiE4typeELi0EEEvPS9_llT2_lT0_lSE_b,"axG",@progbits,_ZN9rocsolver6v33100L8set_diagI19rocblas_complex_numIdEldPKPS3_TnNSt9enable_ifIXaa18rocblas_is_complexIT_Ent18rocblas_is_complexIT1_EEiE4typeELi0EEEvPS9_llT2_lT0_lSE_b,comdat
	.globl	_ZN9rocsolver6v33100L8set_diagI19rocblas_complex_numIdEldPKPS3_TnNSt9enable_ifIXaa18rocblas_is_complexIT_Ent18rocblas_is_complexIT1_EEiE4typeELi0EEEvPS9_llT2_lT0_lSE_b ; -- Begin function _ZN9rocsolver6v33100L8set_diagI19rocblas_complex_numIdEldPKPS3_TnNSt9enable_ifIXaa18rocblas_is_complexIT_Ent18rocblas_is_complexIT1_EEiE4typeELi0EEEvPS9_llT2_lT0_lSE_b
	.p2align	8
	.type	_ZN9rocsolver6v33100L8set_diagI19rocblas_complex_numIdEldPKPS3_TnNSt9enable_ifIXaa18rocblas_is_complexIT_Ent18rocblas_is_complexIT1_EEiE4typeELi0EEEvPS9_llT2_lT0_lSE_b,@function
_ZN9rocsolver6v33100L8set_diagI19rocblas_complex_numIdEldPKPS3_TnNSt9enable_ifIXaa18rocblas_is_complexIT_Ent18rocblas_is_complexIT1_EEiE4typeELi0EEEvPS9_llT2_lT0_lSE_b: ; @_ZN9rocsolver6v33100L8set_diagI19rocblas_complex_numIdEldPKPS3_TnNSt9enable_ifIXaa18rocblas_is_complexIT_Ent18rocblas_is_complexIT1_EEiE4typeELi0EEEvPS9_llT2_lT0_lSE_b
; %bb.0:
	s_load_dword s6, s[0:1], 0x54
	s_load_dwordx2 s[4:5], s[0:1], 0x38
	v_bfe_u32 v0, v0, 10, 10
	v_mov_b32_e32 v3, 0
	s_waitcnt lgkmcnt(0)
	s_lshr_b32 s6, s6, 16
	s_mul_i32 s3, s3, s6
	v_add_u32_e32 v2, s3, v0
	v_cmp_gt_i64_e32 vcc, s[4:5], v[2:3]
	s_and_saveexec_b64 s[4:5], vcc
	s_cbranch_execz .LBB65_5
; %bb.1:
	s_load_dword s16, s[0:1], 0x40
	s_load_dwordx4 s[12:15], s[0:1], 0x20
	s_load_dwordx8 s[4:11], s[0:1], 0x0
	s_mov_b32 s3, 0
	s_waitcnt lgkmcnt(0)
	s_bitcmp1_b32 s16, 0
	s_cselect_b64 s[0:1], -1, 0
	s_lshl_b64 s[16:17], s[2:3], 3
	s_add_u32 s10, s10, s16
	s_addc_u32 s11, s11, s17
	s_load_dwordx2 s[10:11], s[10:11], 0x0
	v_mad_u64_u32 v[0:1], s[16:17], v2, s14, v[2:3]
	s_lshl_b64 s[12:13], s[12:13], 4
	v_mov_b32_e32 v4, v1
	s_waitcnt lgkmcnt(0)
	s_add_u32 s10, s10, s12
	s_addc_u32 s11, s11, s13
	v_mad_u64_u32 v[4:5], s[12:13], v2, s15, v[4:5]
	v_mov_b32_e32 v1, v4
	v_lshl_add_u64 v[4:5], v[0:1], 4, s[10:11]
	flat_load_dwordx2 v[0:1], v[4:5]
	s_mul_i32 s3, s9, s2
	s_mul_hi_u32 s9, s8, s2
	s_mul_i32 s2, s8, s2
	s_add_i32 s3, s9, s3
	s_lshl_b64 s[2:3], s[2:3], 3
	s_add_u32 s4, s4, s2
	s_addc_u32 s5, s5, s3
	s_lshl_b64 s[2:3], s[6:7], 3
	s_add_u32 s2, s4, s2
	s_addc_u32 s3, s5, s3
	s_and_b64 vcc, exec, s[0:1]
	v_lshl_add_u64 v[2:3], v[2:3], 3, s[2:3]
	s_waitcnt vmcnt(0) lgkmcnt(0)
	global_store_dwordx2 v[2:3], v[0:1], off
	s_cbranch_vccnz .LBB65_3
; %bb.2:
	flat_load_dwordx2 v[2:3], v[4:5] offset:8
	s_branch .LBB65_4
.LBB65_3:
	v_mov_b64_e32 v[0:1], 1.0
	v_mov_b64_e32 v[2:3], 0
.LBB65_4:
	s_waitcnt vmcnt(0) lgkmcnt(0)
	flat_store_dwordx4 v[4:5], v[0:3]
.LBB65_5:
	s_endpgm
	.section	.rodata,"a",@progbits
	.p2align	6, 0x0
	.amdhsa_kernel _ZN9rocsolver6v33100L8set_diagI19rocblas_complex_numIdEldPKPS3_TnNSt9enable_ifIXaa18rocblas_is_complexIT_Ent18rocblas_is_complexIT1_EEiE4typeELi0EEEvPS9_llT2_lT0_lSE_b
		.amdhsa_group_segment_fixed_size 0
		.amdhsa_private_segment_fixed_size 0
		.amdhsa_kernarg_size 328
		.amdhsa_user_sgpr_count 2
		.amdhsa_user_sgpr_dispatch_ptr 0
		.amdhsa_user_sgpr_queue_ptr 0
		.amdhsa_user_sgpr_kernarg_segment_ptr 1
		.amdhsa_user_sgpr_dispatch_id 0
		.amdhsa_user_sgpr_kernarg_preload_length 0
		.amdhsa_user_sgpr_kernarg_preload_offset 0
		.amdhsa_user_sgpr_private_segment_size 0
		.amdhsa_uses_dynamic_stack 0
		.amdhsa_enable_private_segment 0
		.amdhsa_system_sgpr_workgroup_id_x 1
		.amdhsa_system_sgpr_workgroup_id_y 1
		.amdhsa_system_sgpr_workgroup_id_z 0
		.amdhsa_system_sgpr_workgroup_info 0
		.amdhsa_system_vgpr_workitem_id 1
		.amdhsa_next_free_vgpr 6
		.amdhsa_next_free_sgpr 18
		.amdhsa_accum_offset 8
		.amdhsa_reserve_vcc 1
		.amdhsa_float_round_mode_32 0
		.amdhsa_float_round_mode_16_64 0
		.amdhsa_float_denorm_mode_32 3
		.amdhsa_float_denorm_mode_16_64 3
		.amdhsa_dx10_clamp 1
		.amdhsa_ieee_mode 1
		.amdhsa_fp16_overflow 0
		.amdhsa_tg_split 0
		.amdhsa_exception_fp_ieee_invalid_op 0
		.amdhsa_exception_fp_denorm_src 0
		.amdhsa_exception_fp_ieee_div_zero 0
		.amdhsa_exception_fp_ieee_overflow 0
		.amdhsa_exception_fp_ieee_underflow 0
		.amdhsa_exception_fp_ieee_inexact 0
		.amdhsa_exception_int_div_zero 0
	.end_amdhsa_kernel
	.section	.text._ZN9rocsolver6v33100L8set_diagI19rocblas_complex_numIdEldPKPS3_TnNSt9enable_ifIXaa18rocblas_is_complexIT_Ent18rocblas_is_complexIT1_EEiE4typeELi0EEEvPS9_llT2_lT0_lSE_b,"axG",@progbits,_ZN9rocsolver6v33100L8set_diagI19rocblas_complex_numIdEldPKPS3_TnNSt9enable_ifIXaa18rocblas_is_complexIT_Ent18rocblas_is_complexIT1_EEiE4typeELi0EEEvPS9_llT2_lT0_lSE_b,comdat
.Lfunc_end65:
	.size	_ZN9rocsolver6v33100L8set_diagI19rocblas_complex_numIdEldPKPS3_TnNSt9enable_ifIXaa18rocblas_is_complexIT_Ent18rocblas_is_complexIT1_EEiE4typeELi0EEEvPS9_llT2_lT0_lSE_b, .Lfunc_end65-_ZN9rocsolver6v33100L8set_diagI19rocblas_complex_numIdEldPKPS3_TnNSt9enable_ifIXaa18rocblas_is_complexIT_Ent18rocblas_is_complexIT1_EEiE4typeELi0EEEvPS9_llT2_lT0_lSE_b
                                        ; -- End function
	.set _ZN9rocsolver6v33100L8set_diagI19rocblas_complex_numIdEldPKPS3_TnNSt9enable_ifIXaa18rocblas_is_complexIT_Ent18rocblas_is_complexIT1_EEiE4typeELi0EEEvPS9_llT2_lT0_lSE_b.num_vgpr, 6
	.set _ZN9rocsolver6v33100L8set_diagI19rocblas_complex_numIdEldPKPS3_TnNSt9enable_ifIXaa18rocblas_is_complexIT_Ent18rocblas_is_complexIT1_EEiE4typeELi0EEEvPS9_llT2_lT0_lSE_b.num_agpr, 0
	.set _ZN9rocsolver6v33100L8set_diagI19rocblas_complex_numIdEldPKPS3_TnNSt9enable_ifIXaa18rocblas_is_complexIT_Ent18rocblas_is_complexIT1_EEiE4typeELi0EEEvPS9_llT2_lT0_lSE_b.numbered_sgpr, 18
	.set _ZN9rocsolver6v33100L8set_diagI19rocblas_complex_numIdEldPKPS3_TnNSt9enable_ifIXaa18rocblas_is_complexIT_Ent18rocblas_is_complexIT1_EEiE4typeELi0EEEvPS9_llT2_lT0_lSE_b.num_named_barrier, 0
	.set _ZN9rocsolver6v33100L8set_diagI19rocblas_complex_numIdEldPKPS3_TnNSt9enable_ifIXaa18rocblas_is_complexIT_Ent18rocblas_is_complexIT1_EEiE4typeELi0EEEvPS9_llT2_lT0_lSE_b.private_seg_size, 0
	.set _ZN9rocsolver6v33100L8set_diagI19rocblas_complex_numIdEldPKPS3_TnNSt9enable_ifIXaa18rocblas_is_complexIT_Ent18rocblas_is_complexIT1_EEiE4typeELi0EEEvPS9_llT2_lT0_lSE_b.uses_vcc, 1
	.set _ZN9rocsolver6v33100L8set_diagI19rocblas_complex_numIdEldPKPS3_TnNSt9enable_ifIXaa18rocblas_is_complexIT_Ent18rocblas_is_complexIT1_EEiE4typeELi0EEEvPS9_llT2_lT0_lSE_b.uses_flat_scratch, 0
	.set _ZN9rocsolver6v33100L8set_diagI19rocblas_complex_numIdEldPKPS3_TnNSt9enable_ifIXaa18rocblas_is_complexIT_Ent18rocblas_is_complexIT1_EEiE4typeELi0EEEvPS9_llT2_lT0_lSE_b.has_dyn_sized_stack, 0
	.set _ZN9rocsolver6v33100L8set_diagI19rocblas_complex_numIdEldPKPS3_TnNSt9enable_ifIXaa18rocblas_is_complexIT_Ent18rocblas_is_complexIT1_EEiE4typeELi0EEEvPS9_llT2_lT0_lSE_b.has_recursion, 0
	.set _ZN9rocsolver6v33100L8set_diagI19rocblas_complex_numIdEldPKPS3_TnNSt9enable_ifIXaa18rocblas_is_complexIT_Ent18rocblas_is_complexIT1_EEiE4typeELi0EEEvPS9_llT2_lT0_lSE_b.has_indirect_call, 0
	.section	.AMDGPU.csdata,"",@progbits
; Kernel info:
; codeLenInByte = 276
; TotalNumSgprs: 24
; NumVgprs: 6
; NumAgprs: 0
; TotalNumVgprs: 6
; ScratchSize: 0
; MemoryBound: 0
; FloatMode: 240
; IeeeMode: 1
; LDSByteSize: 0 bytes/workgroup (compile time only)
; SGPRBlocks: 2
; VGPRBlocks: 0
; NumSGPRsForWavesPerEU: 24
; NumVGPRsForWavesPerEU: 6
; AccumOffset: 8
; Occupancy: 8
; WaveLimiterHint : 1
; COMPUTE_PGM_RSRC2:SCRATCH_EN: 0
; COMPUTE_PGM_RSRC2:USER_SGPR: 2
; COMPUTE_PGM_RSRC2:TRAP_HANDLER: 0
; COMPUTE_PGM_RSRC2:TGID_X_EN: 1
; COMPUTE_PGM_RSRC2:TGID_Y_EN: 1
; COMPUTE_PGM_RSRC2:TGID_Z_EN: 0
; COMPUTE_PGM_RSRC2:TIDIG_COMP_CNT: 1
; COMPUTE_PGM_RSRC3_GFX90A:ACCUM_OFFSET: 1
; COMPUTE_PGM_RSRC3_GFX90A:TG_SPLIT: 0
	.section	.text._ZN9rocsolver6v33100L11set_taubetaI19rocblas_complex_numIdEldPKPS3_EEvPT_lS8_T2_llPT1_ll,"axG",@progbits,_ZN9rocsolver6v33100L11set_taubetaI19rocblas_complex_numIdEldPKPS3_EEvPT_lS8_T2_llPT1_ll,comdat
	.globl	_ZN9rocsolver6v33100L11set_taubetaI19rocblas_complex_numIdEldPKPS3_EEvPT_lS8_T2_llPT1_ll ; -- Begin function _ZN9rocsolver6v33100L11set_taubetaI19rocblas_complex_numIdEldPKPS3_EEvPT_lS8_T2_llPT1_ll
	.p2align	8
	.type	_ZN9rocsolver6v33100L11set_taubetaI19rocblas_complex_numIdEldPKPS3_EEvPT_lS8_T2_llPT1_ll,@function
_ZN9rocsolver6v33100L11set_taubetaI19rocblas_complex_numIdEldPKPS3_EEvPT_lS8_T2_llPT1_ll: ; @_ZN9rocsolver6v33100L11set_taubetaI19rocblas_complex_numIdEldPKPS3_EEvPT_lS8_T2_llPT1_ll
; %bb.0:
	s_load_dwordx8 s[4:11], s[0:1], 0x0
	s_load_dwordx2 s[20:21], s[0:1], 0x20
	s_load_dwordx4 s[12:15], s[0:1], 0x30
	s_mov_b32 s3, 0
	s_lshl_b64 s[16:17], s[2:3], 3
	s_waitcnt lgkmcnt(0)
	s_add_u32 s10, s10, s16
	s_addc_u32 s11, s11, s17
	s_load_dwordx2 s[10:11], s[10:11], 0x0
	s_mov_b64 s[18:19], 0
	s_cmp_eq_u64 s[12:13], 0
	s_mov_b64 s[16:17], 0
	s_cbranch_scc1 .LBB66_2
; %bb.1:
	s_load_dwordx2 s[0:1], s[0:1], 0x40
	s_waitcnt lgkmcnt(0)
	s_mul_i32 s1, s1, s2
	s_mul_hi_u32 s16, s0, s2
	s_mul_i32 s0, s0, s2
	s_add_i32 s1, s16, s1
	s_lshl_b64 s[0:1], s[0:1], 3
	s_add_u32 s12, s12, s0
	s_addc_u32 s13, s13, s1
	s_lshl_b64 s[0:1], s[14:15], 3
	s_add_u32 s16, s12, s0
	s_addc_u32 s17, s13, s1
.LBB66_2:
	s_lshl_b64 s[0:1], s[20:21], 4
	s_waitcnt lgkmcnt(0)
	s_add_u32 s10, s10, s0
	s_addc_u32 s11, s11, s1
	v_mov_b64_e32 v[0:1], s[10:11]
	flat_load_dwordx2 v[2:3], v[0:1] offset:8
	s_mul_i32 s1, s7, s2
	s_mul_hi_u32 s7, s6, s2
	s_mul_i32 s0, s6, s2
	s_add_i32 s1, s7, s1
	s_lshl_b64 s[0:1], s[0:1], 4
	s_add_u32 s6, s4, s0
	s_addc_u32 s7, s5, s1
	s_lshl_b64 s[0:1], s[2:3], 4
	s_add_u32 s8, s8, s0
	s_addc_u32 s9, s9, s1
	s_load_dwordx2 s[2:3], s[8:9], 0x0
	s_cmp_eq_u64 s[16:17], 0
	s_cselect_b64 s[4:5], -1, 0
	s_cmp_lg_u64 s[16:17], 0
	s_cselect_b64 s[0:1], -1, 0
	s_waitcnt lgkmcnt(0)
	v_max_f64 v[0:1], s[2:3], s[2:3]
	s_waitcnt vmcnt(0)
	v_mul_f64 v[4:5], v[2:3], v[2:3]
	v_max_f64 v[0:1], v[0:1], v[4:5]
	v_cmp_nlt_f64_e32 vcc, 0, v[0:1]
                                        ; implicit-def: $vgpr0_vgpr1
	s_and_saveexec_b64 s[12:13], vcc
	s_xor_b64 s[12:13], exec, s[12:13]
	s_cbranch_execnz .LBB66_7
; %bb.3:
	s_or_saveexec_b64 s[12:13], s[12:13]
	s_mov_b64 s[14:15], 0
	s_xor_b64 exec, exec, s[12:13]
	s_cbranch_execnz .LBB66_11
.LBB66_4:
	s_or_b64 exec, exec, s[12:13]
	s_and_saveexec_b64 s[0:1], s[18:19]
	s_cbranch_execnz .LBB66_12
.LBB66_5:
	s_or_b64 exec, exec, s[0:1]
	s_and_saveexec_b64 s[0:1], s[14:15]
	s_cbranch_execnz .LBB66_13
.LBB66_6:
	s_endpgm
.LBB66_7:
	v_mov_b32_e32 v0, 0
	v_mov_b32_e32 v1, 0x3ff00000
	;; [unrolled: 1-line block ×4, first 2 shown]
	global_store_dwordx4 v0, v[0:3], s[8:9]
	s_and_b64 vcc, exec, s[0:1]
	s_nop 0
	v_mov_b32_e32 v1, v0
	global_store_dwordx4 v0, v[0:3], s[6:7]
	s_cbranch_vccz .LBB66_9
; %bb.8:
	s_nop 0
	v_mov_b64_e32 v[0:1], s[10:11]
	flat_load_dwordx2 v[0:1], v[0:1]
	s_mov_b64 s[14:15], -1
	s_branch .LBB66_10
.LBB66_9:
	s_mov_b64 s[14:15], 0
                                        ; implicit-def: $vgpr0_vgpr1
.LBB66_10:
	s_and_b64 s[18:19], s[14:15], exec
                                        ; implicit-def: $vgpr4_vgpr5
                                        ; implicit-def: $vgpr2_vgpr3
	s_or_saveexec_b64 s[12:13], s[12:13]
	s_mov_b64 s[14:15], 0
	s_xor_b64 exec, exec, s[12:13]
	s_cbranch_execz .LBB66_4
.LBB66_11:
	s_waitcnt vmcnt(0) lgkmcnt(0)
	v_mov_b64_e32 v[0:1], s[10:11]
	flat_load_dwordx2 v[6:7], v[0:1]
	s_mov_b32 s20, 0
	s_brev_b32 s21, 8
	v_mov_b32_e32 v8, 0x100
	v_mov_b32_e32 v10, 0xffffff80
	;; [unrolled: 1-line block ×3, first 2 shown]
	s_and_b64 s[14:15], s[4:5], exec
	v_mov_b32_e32 v40, 0
	s_andn2_b64 s[18:19], s[18:19], exec
	s_waitcnt vmcnt(0) lgkmcnt(0)
	v_fma_f64 v[0:1], v[6:7], v[6:7], v[4:5]
	v_add_f64 v[0:1], s[2:3], v[0:1]
	v_cmp_gt_f64_e32 vcc, s[20:21], v[0:1]
	s_and_b64 s[20:21], s[0:1], exec
	s_or_b64 s[18:19], s[18:19], s[20:21]
	v_cndmask_b32_e32 v8, 0, v8, vcc
	v_ldexp_f64 v[0:1], v[0:1], v8
	v_rsq_f64_e32 v[8:9], v[0:1]
	v_cndmask_b32_e32 v15, 0, v10, vcc
	v_cmp_class_f64_e32 vcc, v[0:1], v14
	v_mul_f64 v[10:11], v[0:1], v[8:9]
	v_mul_f64 v[8:9], v[8:9], 0.5
	v_fma_f64 v[12:13], -v[8:9], v[10:11], 0.5
	v_fmac_f64_e32 v[10:11], v[10:11], v[12:13]
	v_fmac_f64_e32 v[8:9], v[8:9], v[12:13]
	v_fma_f64 v[12:13], -v[10:11], v[10:11], v[0:1]
	v_fmac_f64_e32 v[10:11], v[12:13], v[8:9]
	v_fma_f64 v[12:13], -v[10:11], v[10:11], v[0:1]
	v_fmac_f64_e32 v[10:11], v[12:13], v[8:9]
	v_ldexp_f64 v[8:9], v[10:11], v15
	v_cndmask_b32_e32 v1, v9, v1, vcc
	v_cndmask_b32_e32 v0, v8, v0, vcc
	v_xor_b32_e32 v8, 0x80000000, v1
	v_cmp_le_f64_e32 vcc, 0, v[6:7]
	s_nop 1
	v_cndmask_b32_e32 v1, v1, v8, vcc
	v_add_f64 v[8:9], v[6:7], -v[0:1]
	v_add_f64 v[10:11], v[0:1], -v[6:7]
	v_div_scale_f64 v[6:7], s[0:1], v[0:1], v[0:1], -v[2:3]
	v_fmac_f64_e32 v[4:5], v[8:9], v[8:9]
	v_div_scale_f64 v[14:15], s[2:3], v[0:1], v[0:1], v[10:11]
	v_rcp_f64_e32 v[18:19], v[6:7]
	v_div_scale_f64 v[20:21], s[4:5], v[4:5], v[4:5], v[8:9]
	v_div_scale_f64 v[24:25], s[4:5], v[4:5], v[4:5], -v[2:3]
	v_rcp_f64_e32 v[28:29], v[14:15]
	v_rcp_f64_e32 v[30:31], v[20:21]
	;; [unrolled: 1-line block ×3, first 2 shown]
	v_fma_f64 v[34:35], -v[6:7], v[18:19], 1.0
	v_fma_f64 v[36:37], -v[14:15], v[28:29], 1.0
	v_fmac_f64_e32 v[18:19], v[18:19], v[34:35]
	v_fma_f64 v[34:35], -v[20:21], v[30:31], 1.0
	v_fma_f64 v[38:39], -v[24:25], v[32:33], 1.0
	v_fmac_f64_e32 v[28:29], v[28:29], v[36:37]
	v_fma_f64 v[36:37], -v[6:7], v[18:19], 1.0
	v_fmac_f64_e32 v[30:31], v[30:31], v[34:35]
	v_div_scale_f64 v[12:13], s[0:1], -v[2:3], v[0:1], -v[2:3]
	v_fmac_f64_e32 v[32:33], v[32:33], v[38:39]
	v_fma_f64 v[34:35], -v[14:15], v[28:29], 1.0
	v_fmac_f64_e32 v[18:19], v[18:19], v[36:37]
	v_fma_f64 v[36:37], -v[20:21], v[30:31], 1.0
	v_div_scale_f64 v[16:17], s[2:3], v[10:11], v[0:1], v[10:11]
	v_div_scale_f64 v[22:23], vcc, v[8:9], v[4:5], v[8:9]
	v_fma_f64 v[38:39], -v[24:25], v[32:33], 1.0
	v_fmac_f64_e32 v[28:29], v[28:29], v[34:35]
	v_mul_f64 v[34:35], v[12:13], v[18:19]
	v_fmac_f64_e32 v[30:31], v[30:31], v[36:37]
	v_div_scale_f64 v[26:27], s[4:5], -v[2:3], v[4:5], -v[2:3]
	v_fmac_f64_e32 v[32:33], v[32:33], v[38:39]
	v_mul_f64 v[36:37], v[16:17], v[28:29]
	v_fma_f64 v[12:13], -v[6:7], v[34:35], v[12:13]
	v_mul_f64 v[6:7], v[22:23], v[30:31]
	v_mul_f64 v[38:39], v[26:27], v[32:33]
	v_fma_f64 v[14:15], -v[14:15], v[36:37], v[16:17]
	v_fma_f64 v[16:17], -v[20:21], v[6:7], v[22:23]
	;; [unrolled: 1-line block ×3, first 2 shown]
	v_div_fmas_f64 v[6:7], v[16:17], v[30:31], v[6:7]
	s_mov_b64 vcc, s[4:5]
	v_div_fixup_f64 v[6:7], v[6:7], v[4:5], v[8:9]
	v_div_fmas_f64 v[8:9], v[20:21], v[32:33], v[38:39]
	s_mov_b64 vcc, s[2:3]
	v_div_fixup_f64 v[8:9], v[8:9], v[4:5], -v[2:3]
	v_div_fmas_f64 v[4:5], v[14:15], v[28:29], v[36:37]
	s_mov_b64 vcc, s[0:1]
	global_store_dwordx4 v40, v[6:9], s[8:9]
	v_div_fixup_f64 v[4:5], v[4:5], v[0:1], v[10:11]
	s_nop 0
	v_div_fmas_f64 v[6:7], v[12:13], v[18:19], v[34:35]
	v_div_fixup_f64 v[6:7], v[6:7], v[0:1], -v[2:3]
	global_store_dwordx4 v40, v[4:7], s[6:7]
	s_or_b64 exec, exec, s[12:13]
	s_and_saveexec_b64 s[0:1], s[18:19]
	s_cbranch_execz .LBB66_5
.LBB66_12:
	v_mov_b32_e32 v2, 0
	s_waitcnt vmcnt(0) lgkmcnt(0)
	global_store_dwordx2 v2, v[0:1], s[16:17]
	v_mov_b64_e32 v[0:1], 1.0
	s_or_b64 s[14:15], s[14:15], exec
	s_or_b64 exec, exec, s[0:1]
	s_and_saveexec_b64 s[0:1], s[14:15]
	s_cbranch_execz .LBB66_6
.LBB66_13:
	v_mov_b32_e32 v2, 0
	v_mov_b32_e32 v3, v2
	v_mov_b64_e32 v[4:5], s[10:11]
	s_waitcnt vmcnt(0) lgkmcnt(0)
	flat_store_dwordx4 v[4:5], v[0:3]
	s_endpgm
	.section	.rodata,"a",@progbits
	.p2align	6, 0x0
	.amdhsa_kernel _ZN9rocsolver6v33100L11set_taubetaI19rocblas_complex_numIdEldPKPS3_EEvPT_lS8_T2_llPT1_ll
		.amdhsa_group_segment_fixed_size 0
		.amdhsa_private_segment_fixed_size 0
		.amdhsa_kernarg_size 72
		.amdhsa_user_sgpr_count 2
		.amdhsa_user_sgpr_dispatch_ptr 0
		.amdhsa_user_sgpr_queue_ptr 0
		.amdhsa_user_sgpr_kernarg_segment_ptr 1
		.amdhsa_user_sgpr_dispatch_id 0
		.amdhsa_user_sgpr_kernarg_preload_length 0
		.amdhsa_user_sgpr_kernarg_preload_offset 0
		.amdhsa_user_sgpr_private_segment_size 0
		.amdhsa_uses_dynamic_stack 0
		.amdhsa_enable_private_segment 0
		.amdhsa_system_sgpr_workgroup_id_x 1
		.amdhsa_system_sgpr_workgroup_id_y 0
		.amdhsa_system_sgpr_workgroup_id_z 0
		.amdhsa_system_sgpr_workgroup_info 0
		.amdhsa_system_vgpr_workitem_id 0
		.amdhsa_next_free_vgpr 41
		.amdhsa_next_free_sgpr 22
		.amdhsa_accum_offset 44
		.amdhsa_reserve_vcc 1
		.amdhsa_float_round_mode_32 0
		.amdhsa_float_round_mode_16_64 0
		.amdhsa_float_denorm_mode_32 3
		.amdhsa_float_denorm_mode_16_64 3
		.amdhsa_dx10_clamp 1
		.amdhsa_ieee_mode 1
		.amdhsa_fp16_overflow 0
		.amdhsa_tg_split 0
		.amdhsa_exception_fp_ieee_invalid_op 0
		.amdhsa_exception_fp_denorm_src 0
		.amdhsa_exception_fp_ieee_div_zero 0
		.amdhsa_exception_fp_ieee_overflow 0
		.amdhsa_exception_fp_ieee_underflow 0
		.amdhsa_exception_fp_ieee_inexact 0
		.amdhsa_exception_int_div_zero 0
	.end_amdhsa_kernel
	.section	.text._ZN9rocsolver6v33100L11set_taubetaI19rocblas_complex_numIdEldPKPS3_EEvPT_lS8_T2_llPT1_ll,"axG",@progbits,_ZN9rocsolver6v33100L11set_taubetaI19rocblas_complex_numIdEldPKPS3_EEvPT_lS8_T2_llPT1_ll,comdat
.Lfunc_end66:
	.size	_ZN9rocsolver6v33100L11set_taubetaI19rocblas_complex_numIdEldPKPS3_EEvPT_lS8_T2_llPT1_ll, .Lfunc_end66-_ZN9rocsolver6v33100L11set_taubetaI19rocblas_complex_numIdEldPKPS3_EEvPT_lS8_T2_llPT1_ll
                                        ; -- End function
	.set _ZN9rocsolver6v33100L11set_taubetaI19rocblas_complex_numIdEldPKPS3_EEvPT_lS8_T2_llPT1_ll.num_vgpr, 41
	.set _ZN9rocsolver6v33100L11set_taubetaI19rocblas_complex_numIdEldPKPS3_EEvPT_lS8_T2_llPT1_ll.num_agpr, 0
	.set _ZN9rocsolver6v33100L11set_taubetaI19rocblas_complex_numIdEldPKPS3_EEvPT_lS8_T2_llPT1_ll.numbered_sgpr, 22
	.set _ZN9rocsolver6v33100L11set_taubetaI19rocblas_complex_numIdEldPKPS3_EEvPT_lS8_T2_llPT1_ll.num_named_barrier, 0
	.set _ZN9rocsolver6v33100L11set_taubetaI19rocblas_complex_numIdEldPKPS3_EEvPT_lS8_T2_llPT1_ll.private_seg_size, 0
	.set _ZN9rocsolver6v33100L11set_taubetaI19rocblas_complex_numIdEldPKPS3_EEvPT_lS8_T2_llPT1_ll.uses_vcc, 1
	.set _ZN9rocsolver6v33100L11set_taubetaI19rocblas_complex_numIdEldPKPS3_EEvPT_lS8_T2_llPT1_ll.uses_flat_scratch, 0
	.set _ZN9rocsolver6v33100L11set_taubetaI19rocblas_complex_numIdEldPKPS3_EEvPT_lS8_T2_llPT1_ll.has_dyn_sized_stack, 0
	.set _ZN9rocsolver6v33100L11set_taubetaI19rocblas_complex_numIdEldPKPS3_EEvPT_lS8_T2_llPT1_ll.has_recursion, 0
	.set _ZN9rocsolver6v33100L11set_taubetaI19rocblas_complex_numIdEldPKPS3_EEvPT_lS8_T2_llPT1_ll.has_indirect_call, 0
	.section	.AMDGPU.csdata,"",@progbits
; Kernel info:
; codeLenInByte = 1044
; TotalNumSgprs: 28
; NumVgprs: 41
; NumAgprs: 0
; TotalNumVgprs: 41
; ScratchSize: 0
; MemoryBound: 0
; FloatMode: 240
; IeeeMode: 1
; LDSByteSize: 0 bytes/workgroup (compile time only)
; SGPRBlocks: 3
; VGPRBlocks: 5
; NumSGPRsForWavesPerEU: 28
; NumVGPRsForWavesPerEU: 41
; AccumOffset: 44
; Occupancy: 8
; WaveLimiterHint : 1
; COMPUTE_PGM_RSRC2:SCRATCH_EN: 0
; COMPUTE_PGM_RSRC2:USER_SGPR: 2
; COMPUTE_PGM_RSRC2:TRAP_HANDLER: 0
; COMPUTE_PGM_RSRC2:TGID_X_EN: 1
; COMPUTE_PGM_RSRC2:TGID_Y_EN: 0
; COMPUTE_PGM_RSRC2:TGID_Z_EN: 0
; COMPUTE_PGM_RSRC2:TIDIG_COMP_CNT: 0
; COMPUTE_PGM_RSRC3_GFX90A:ACCUM_OFFSET: 10
; COMPUTE_PGM_RSRC3_GFX90A:TG_SPLIT: 0
	.section	.text._ZN9rocsolver6v33100L13conj_in_placeI19rocblas_complex_numIdElPS3_TnNSt9enable_ifIX18rocblas_is_complexIT_EEiE4typeELi0EEEvT0_S9_T1_lS9_l,"axG",@progbits,_ZN9rocsolver6v33100L13conj_in_placeI19rocblas_complex_numIdElPS3_TnNSt9enable_ifIX18rocblas_is_complexIT_EEiE4typeELi0EEEvT0_S9_T1_lS9_l,comdat
	.globl	_ZN9rocsolver6v33100L13conj_in_placeI19rocblas_complex_numIdElPS3_TnNSt9enable_ifIX18rocblas_is_complexIT_EEiE4typeELi0EEEvT0_S9_T1_lS9_l ; -- Begin function _ZN9rocsolver6v33100L13conj_in_placeI19rocblas_complex_numIdElPS3_TnNSt9enable_ifIX18rocblas_is_complexIT_EEiE4typeELi0EEEvT0_S9_T1_lS9_l
	.p2align	8
	.type	_ZN9rocsolver6v33100L13conj_in_placeI19rocblas_complex_numIdElPS3_TnNSt9enable_ifIX18rocblas_is_complexIT_EEiE4typeELi0EEEvT0_S9_T1_lS9_l,@function
_ZN9rocsolver6v33100L13conj_in_placeI19rocblas_complex_numIdElPS3_TnNSt9enable_ifIX18rocblas_is_complexIT_EEiE4typeELi0EEEvT0_S9_T1_lS9_l: ; @_ZN9rocsolver6v33100L13conj_in_placeI19rocblas_complex_numIdElPS3_TnNSt9enable_ifIX18rocblas_is_complexIT_EEiE4typeELi0EEEvT0_S9_T1_lS9_l
; %bb.0:
	s_load_dword s5, s[0:1], 0x3c
	s_load_dwordx8 s[8:15], s[0:1], 0x0
	v_and_b32_e32 v1, 0x3ff, v0
	v_mov_b32_e32 v3, 0
	v_bfe_u32 v0, v0, 10, 10
	s_waitcnt lgkmcnt(0)
	s_lshr_b32 s6, s5, 16
	s_and_b32 s5, s5, 0xffff
	s_mul_i32 s2, s2, s5
	s_mul_i32 s3, s3, s6
	v_add_u32_e32 v2, s2, v1
	v_add_u32_e32 v0, s3, v0
	v_mov_b32_e32 v1, v3
	v_cmp_gt_i64_e32 vcc, s[8:9], v[2:3]
	v_cmp_gt_i64_e64 s[2:3], s[10:11], v[0:1]
	s_and_b64 s[2:3], vcc, s[2:3]
	s_and_saveexec_b64 s[6:7], s[2:3]
	s_cbranch_execz .LBB67_2
; %bb.1:
	s_load_dwordx4 s[0:3], s[0:1], 0x20
	s_waitcnt lgkmcnt(0)
	s_mul_i32 s3, s3, s4
	s_mul_hi_u32 s5, s2, s4
	s_mul_i32 s2, s2, s4
	s_add_i32 s3, s5, s3
	s_lshl_b64 s[2:3], s[2:3], 4
	s_add_u32 s4, s12, s2
	s_addc_u32 s5, s13, s3
	s_lshl_b64 s[2:3], s[14:15], 4
	s_add_u32 s2, s4, s2
	s_addc_u32 s3, s5, s3
	v_mad_u64_u32 v[4:5], s[4:5], s0, v0, 0
	v_mov_b32_e32 v6, v5
	v_mad_u64_u32 v[0:1], s[0:1], s1, v0, v[6:7]
	v_mov_b32_e32 v5, v0
	v_lshl_add_u64 v[0:1], v[4:5], 4, s[2:3]
	v_lshl_add_u64 v[0:1], v[2:3], 4, v[0:1]
	global_load_dwordx2 v[2:3], v[0:1], off offset:8
	s_waitcnt vmcnt(0)
	v_xor_b32_e32 v3, 0x80000000, v3
	global_store_dwordx2 v[0:1], v[2:3], off offset:8
.LBB67_2:
	s_endpgm
	.section	.rodata,"a",@progbits
	.p2align	6, 0x0
	.amdhsa_kernel _ZN9rocsolver6v33100L13conj_in_placeI19rocblas_complex_numIdElPS3_TnNSt9enable_ifIX18rocblas_is_complexIT_EEiE4typeELi0EEEvT0_S9_T1_lS9_l
		.amdhsa_group_segment_fixed_size 0
		.amdhsa_private_segment_fixed_size 0
		.amdhsa_kernarg_size 304
		.amdhsa_user_sgpr_count 2
		.amdhsa_user_sgpr_dispatch_ptr 0
		.amdhsa_user_sgpr_queue_ptr 0
		.amdhsa_user_sgpr_kernarg_segment_ptr 1
		.amdhsa_user_sgpr_dispatch_id 0
		.amdhsa_user_sgpr_kernarg_preload_length 0
		.amdhsa_user_sgpr_kernarg_preload_offset 0
		.amdhsa_user_sgpr_private_segment_size 0
		.amdhsa_uses_dynamic_stack 0
		.amdhsa_enable_private_segment 0
		.amdhsa_system_sgpr_workgroup_id_x 1
		.amdhsa_system_sgpr_workgroup_id_y 1
		.amdhsa_system_sgpr_workgroup_id_z 1
		.amdhsa_system_sgpr_workgroup_info 0
		.amdhsa_system_vgpr_workitem_id 1
		.amdhsa_next_free_vgpr 8
		.amdhsa_next_free_sgpr 16
		.amdhsa_accum_offset 8
		.amdhsa_reserve_vcc 1
		.amdhsa_float_round_mode_32 0
		.amdhsa_float_round_mode_16_64 0
		.amdhsa_float_denorm_mode_32 3
		.amdhsa_float_denorm_mode_16_64 3
		.amdhsa_dx10_clamp 1
		.amdhsa_ieee_mode 1
		.amdhsa_fp16_overflow 0
		.amdhsa_tg_split 0
		.amdhsa_exception_fp_ieee_invalid_op 0
		.amdhsa_exception_fp_denorm_src 0
		.amdhsa_exception_fp_ieee_div_zero 0
		.amdhsa_exception_fp_ieee_overflow 0
		.amdhsa_exception_fp_ieee_underflow 0
		.amdhsa_exception_fp_ieee_inexact 0
		.amdhsa_exception_int_div_zero 0
	.end_amdhsa_kernel
	.section	.text._ZN9rocsolver6v33100L13conj_in_placeI19rocblas_complex_numIdElPS3_TnNSt9enable_ifIX18rocblas_is_complexIT_EEiE4typeELi0EEEvT0_S9_T1_lS9_l,"axG",@progbits,_ZN9rocsolver6v33100L13conj_in_placeI19rocblas_complex_numIdElPS3_TnNSt9enable_ifIX18rocblas_is_complexIT_EEiE4typeELi0EEEvT0_S9_T1_lS9_l,comdat
.Lfunc_end67:
	.size	_ZN9rocsolver6v33100L13conj_in_placeI19rocblas_complex_numIdElPS3_TnNSt9enable_ifIX18rocblas_is_complexIT_EEiE4typeELi0EEEvT0_S9_T1_lS9_l, .Lfunc_end67-_ZN9rocsolver6v33100L13conj_in_placeI19rocblas_complex_numIdElPS3_TnNSt9enable_ifIX18rocblas_is_complexIT_EEiE4typeELi0EEEvT0_S9_T1_lS9_l
                                        ; -- End function
	.set _ZN9rocsolver6v33100L13conj_in_placeI19rocblas_complex_numIdElPS3_TnNSt9enable_ifIX18rocblas_is_complexIT_EEiE4typeELi0EEEvT0_S9_T1_lS9_l.num_vgpr, 8
	.set _ZN9rocsolver6v33100L13conj_in_placeI19rocblas_complex_numIdElPS3_TnNSt9enable_ifIX18rocblas_is_complexIT_EEiE4typeELi0EEEvT0_S9_T1_lS9_l.num_agpr, 0
	.set _ZN9rocsolver6v33100L13conj_in_placeI19rocblas_complex_numIdElPS3_TnNSt9enable_ifIX18rocblas_is_complexIT_EEiE4typeELi0EEEvT0_S9_T1_lS9_l.numbered_sgpr, 16
	.set _ZN9rocsolver6v33100L13conj_in_placeI19rocblas_complex_numIdElPS3_TnNSt9enable_ifIX18rocblas_is_complexIT_EEiE4typeELi0EEEvT0_S9_T1_lS9_l.num_named_barrier, 0
	.set _ZN9rocsolver6v33100L13conj_in_placeI19rocblas_complex_numIdElPS3_TnNSt9enable_ifIX18rocblas_is_complexIT_EEiE4typeELi0EEEvT0_S9_T1_lS9_l.private_seg_size, 0
	.set _ZN9rocsolver6v33100L13conj_in_placeI19rocblas_complex_numIdElPS3_TnNSt9enable_ifIX18rocblas_is_complexIT_EEiE4typeELi0EEEvT0_S9_T1_lS9_l.uses_vcc, 1
	.set _ZN9rocsolver6v33100L13conj_in_placeI19rocblas_complex_numIdElPS3_TnNSt9enable_ifIX18rocblas_is_complexIT_EEiE4typeELi0EEEvT0_S9_T1_lS9_l.uses_flat_scratch, 0
	.set _ZN9rocsolver6v33100L13conj_in_placeI19rocblas_complex_numIdElPS3_TnNSt9enable_ifIX18rocblas_is_complexIT_EEiE4typeELi0EEEvT0_S9_T1_lS9_l.has_dyn_sized_stack, 0
	.set _ZN9rocsolver6v33100L13conj_in_placeI19rocblas_complex_numIdElPS3_TnNSt9enable_ifIX18rocblas_is_complexIT_EEiE4typeELi0EEEvT0_S9_T1_lS9_l.has_recursion, 0
	.set _ZN9rocsolver6v33100L13conj_in_placeI19rocblas_complex_numIdElPS3_TnNSt9enable_ifIX18rocblas_is_complexIT_EEiE4typeELi0EEEvT0_S9_T1_lS9_l.has_indirect_call, 0
	.section	.AMDGPU.csdata,"",@progbits
; Kernel info:
; codeLenInByte = 220
; TotalNumSgprs: 22
; NumVgprs: 8
; NumAgprs: 0
; TotalNumVgprs: 8
; ScratchSize: 0
; MemoryBound: 0
; FloatMode: 240
; IeeeMode: 1
; LDSByteSize: 0 bytes/workgroup (compile time only)
; SGPRBlocks: 2
; VGPRBlocks: 0
; NumSGPRsForWavesPerEU: 22
; NumVGPRsForWavesPerEU: 8
; AccumOffset: 8
; Occupancy: 8
; WaveLimiterHint : 0
; COMPUTE_PGM_RSRC2:SCRATCH_EN: 0
; COMPUTE_PGM_RSRC2:USER_SGPR: 2
; COMPUTE_PGM_RSRC2:TRAP_HANDLER: 0
; COMPUTE_PGM_RSRC2:TGID_X_EN: 1
; COMPUTE_PGM_RSRC2:TGID_Y_EN: 1
; COMPUTE_PGM_RSRC2:TGID_Z_EN: 1
; COMPUTE_PGM_RSRC2:TIDIG_COMP_CNT: 1
; COMPUTE_PGM_RSRC3_GFX90A:ACCUM_OFFSET: 1
; COMPUTE_PGM_RSRC3_GFX90A:TG_SPLIT: 0
	.section	.text._ZN9rocsolver6v33100L16larf_left_kernelILi1024E19rocblas_complex_numIdElPKPS3_EEvT1_S7_T2_lS7_lPKT0_lS8_lS7_l,"axG",@progbits,_ZN9rocsolver6v33100L16larf_left_kernelILi1024E19rocblas_complex_numIdElPKPS3_EEvT1_S7_T2_lS7_lPKT0_lS8_lS7_l,comdat
	.globl	_ZN9rocsolver6v33100L16larf_left_kernelILi1024E19rocblas_complex_numIdElPKPS3_EEvT1_S7_T2_lS7_lPKT0_lS8_lS7_l ; -- Begin function _ZN9rocsolver6v33100L16larf_left_kernelILi1024E19rocblas_complex_numIdElPKPS3_EEvT1_S7_T2_lS7_lPKT0_lS8_lS7_l
	.p2align	8
	.type	_ZN9rocsolver6v33100L16larf_left_kernelILi1024E19rocblas_complex_numIdElPKPS3_EEvT1_S7_T2_lS7_lPKT0_lS8_lS7_l,@function
_ZN9rocsolver6v33100L16larf_left_kernelILi1024E19rocblas_complex_numIdElPKPS3_EEvT1_S7_T2_lS7_lPKT0_lS8_lS7_l: ; @_ZN9rocsolver6v33100L16larf_left_kernelILi1024E19rocblas_complex_numIdElPKPS3_EEvT1_S7_T2_lS7_lPKT0_lS8_lS7_l
; %bb.0:
	s_load_dwordx2 s[6:7], s[0:1], 0x0
	s_load_dwordx4 s[16:19], s[0:1], 0x10
	s_load_dwordx2 s[20:21], s[0:1], 0x20
	s_load_dwordx8 s[8:15], s[0:1], 0x30
	s_load_dwordx2 s[24:25], s[0:1], 0x50
	s_mov_b32 s5, 0
	s_lshl_b64 s[22:23], s[4:5], 3
	s_waitcnt lgkmcnt(0)
	s_add_u32 s0, s16, s22
	s_addc_u32 s1, s17, s23
	s_add_u32 s12, s12, s22
	s_addc_u32 s13, s13, s23
	s_load_dwordx2 s[12:13], s[12:13], 0x0
	v_cmp_gt_i64_e64 s[16:17], s[20:21], 0
	s_mov_b64 s[22:23], 0
	s_and_b64 vcc, exec, s[16:17]
	s_cbranch_vccnz .LBB68_2
; %bb.1:
	s_sub_u32 s2, 1, s6
	s_subb_u32 s5, 0, s7
	s_mul_i32 s5, s20, s5
	s_mul_hi_u32 s16, s20, s2
	s_add_i32 s5, s16, s5
	s_mul_i32 s16, s21, s2
	s_add_i32 s23, s5, s16
	s_mul_i32 s22, s20, s2
.LBB68_2:
	v_mov_b32_e32 v1, 0
	v_cmp_gt_i64_e32 vcc, s[6:7], v[0:1]
	v_mov_b64_e32 v[2:3], 0
	s_mul_i32 s5, s25, s3
	s_mul_hi_u32 s25, s24, s3
	s_mul_i32 s2, s24, s3
	v_mov_b64_e32 v[4:5], 0
	s_and_saveexec_b64 s[16:17], vcc
	s_cbranch_execz .LBB68_8
; %bb.3:
	s_load_dwordx2 s[0:1], s[0:1], 0x0
	v_mad_u64_u32 v[2:3], s[26:27], s20, v0, 0
	s_lshl_b64 s[22:23], s[22:23], 4
	s_lshl_b64 s[18:19], s[18:19], 4
	v_mov_b32_e32 v4, v3
	s_waitcnt lgkmcnt(0)
	s_add_u32 s0, s0, s18
	v_mad_u64_u32 v[4:5], s[26:27], s21, v0, v[4:5]
	s_addc_u32 s1, s1, s19
	v_mov_b32_e32 v3, v4
	s_add_u32 s0, s0, s22
	v_lshl_add_u32 v4, v0, 4, 0
	s_addc_u32 s1, s1, s23
	v_add_u32_e32 v10, 0x100, v4
	v_lshl_add_u64 v[2:3], v[2:3], 4, s[0:1]
	s_lshl_b64 s[18:19], s[20:21], 14
	s_mov_b64 s[20:21], 0
	s_mov_b64 s[22:23], 0x400
	v_mov_b32_e32 v6, v10
	v_mov_b64_e32 v[4:5], v[0:1]
.LBB68_4:                               ; =>This Inner Loop Header: Depth=1
	flat_load_dwordx4 v[12:15], v[2:3]
	v_lshl_add_u64 v[4:5], v[4:5], 0, s[22:23]
	v_cmp_le_i64_e64 s[0:1], s[6:7], v[4:5]
	v_lshl_add_u64 v[2:3], v[2:3], 0, s[18:19]
	s_or_b64 s[20:21], s[0:1], s[20:21]
	s_waitcnt vmcnt(0) lgkmcnt(0)
	ds_write2_b64 v6, v[12:13], v[14:15] offset1:1
	v_add_u32_e32 v6, 0x4000, v6
	s_andn2_b64 exec, exec, s[20:21]
	s_cbranch_execnz .LBB68_4
; %bb.5:
	s_or_b64 exec, exec, s[20:21]
	s_add_i32 s3, s25, s5
	s_lshl_b64 s[0:1], s[2:3], 4
	s_lshl_b64 s[18:19], s[14:15], 4
	s_add_u32 s0, s0, s18
	s_addc_u32 s1, s1, s19
	s_add_u32 s0, s12, s0
	v_lshlrev_b32_e32 v2, 4, v0
	v_mov_b32_e32 v3, 0
	s_addc_u32 s1, s13, s1
	v_lshl_add_u64 v[6:7], s[0:1], 0, v[2:3]
	v_mov_b64_e32 v[2:3], 0
	s_mov_b64 s[18:19], 0
	s_mov_b64 s[20:21], 0x400
	s_mov_b64 s[22:23], 0x4000
	v_mov_b64_e32 v[8:9], v[0:1]
	v_mov_b64_e32 v[4:5], 0
.LBB68_6:                               ; =>This Inner Loop Header: Depth=1
	flat_load_dwordx4 v[12:15], v[6:7]
	ds_read2_b64 v[16:19], v10 offset1:1
	v_lshl_add_u64 v[8:9], v[8:9], 0, s[20:21]
	v_cmp_le_i64_e64 s[0:1], s[6:7], v[8:9]
	v_lshl_add_u64 v[6:7], v[6:7], 0, s[22:23]
	v_add_u32_e32 v10, 0x4000, v10
	s_or_b64 s[18:19], s[0:1], s[18:19]
	s_waitcnt vmcnt(0) lgkmcnt(0)
	v_mul_f64 v[20:21], v[14:15], v[18:19]
	v_mul_f64 v[14:15], v[14:15], v[16:17]
	v_fmac_f64_e32 v[20:21], v[12:13], v[16:17]
	v_fma_f64 v[12:13], v[12:13], v[18:19], -v[14:15]
	v_add_f64 v[4:5], v[4:5], v[20:21]
	v_add_f64 v[2:3], v[2:3], v[12:13]
	s_andn2_b64 exec, exec, s[18:19]
	s_cbranch_execnz .LBB68_6
; %bb.7:
	s_or_b64 exec, exec, s[18:19]
.LBB68_8:
	s_or_b64 exec, exec, s[16:17]
	v_mbcnt_lo_u32_b32 v6, -1, 0
	v_mbcnt_hi_u32_b32 v10, -1, v6
	v_and_b32_e32 v11, 63, v10
	v_cmp_ne_u32_e64 s[0:1], 63, v11
	s_nop 1
	v_addc_co_u32_e64 v6, s[0:1], 0, v10, s[0:1]
	v_lshlrev_b32_e32 v9, 2, v6
	ds_bpermute_b32 v6, v9, v4
	ds_bpermute_b32 v7, v9, v5
	;; [unrolled: 1-line block ×4, first 2 shown]
	v_cmp_gt_u32_e64 s[0:1], 62, v11
	s_waitcnt lgkmcnt(0)
	v_add_f64 v[4:5], v[4:5], v[6:7]
	v_cndmask_b32_e64 v6, 0, 2, s[0:1]
	v_add_f64 v[2:3], v[2:3], v[8:9]
	v_add_lshl_u32 v9, v6, v10, 2
	ds_bpermute_b32 v6, v9, v4
	ds_bpermute_b32 v7, v9, v5
	ds_bpermute_b32 v8, v9, v2
	ds_bpermute_b32 v9, v9, v3
	v_cmp_gt_u32_e64 s[0:1], 60, v11
	s_waitcnt lgkmcnt(2)
	v_add_f64 v[4:5], v[4:5], v[6:7]
	v_cndmask_b32_e64 v6, 0, 4, s[0:1]
	s_waitcnt lgkmcnt(0)
	v_add_f64 v[2:3], v[2:3], v[8:9]
	v_add_lshl_u32 v9, v6, v10, 2
	ds_bpermute_b32 v6, v9, v4
	ds_bpermute_b32 v7, v9, v5
	ds_bpermute_b32 v8, v9, v2
	ds_bpermute_b32 v9, v9, v3
	v_cmp_gt_u32_e64 s[0:1], 56, v11
	s_waitcnt lgkmcnt(2)
	v_add_f64 v[4:5], v[4:5], v[6:7]
	v_cndmask_b32_e64 v6, 0, 8, s[0:1]
	s_waitcnt lgkmcnt(0)
	;; [unrolled: 11-line block ×3, first 2 shown]
	v_add_f64 v[2:3], v[2:3], v[8:9]
	v_add_lshl_u32 v9, v6, v10, 2
	ds_bpermute_b32 v6, v9, v4
	ds_bpermute_b32 v7, v9, v5
	;; [unrolled: 1-line block ×4, first 2 shown]
	s_waitcnt lgkmcnt(2)
	v_add_f64 v[4:5], v[4:5], v[6:7]
	s_waitcnt lgkmcnt(0)
	v_add_f64 v[6:7], v[2:3], v[8:9]
	v_mov_b32_e32 v2, 0x80
	v_lshl_or_b32 v9, v10, 2, v2
	ds_bpermute_b32 v2, v9, v4
	ds_bpermute_b32 v3, v9, v5
	;; [unrolled: 1-line block ×4, first 2 shown]
	s_waitcnt lgkmcnt(2)
	v_add_f64 v[2:3], v[4:5], v[2:3]
	s_waitcnt lgkmcnt(0)
	v_add_f64 v[4:5], v[6:7], v[8:9]
	v_and_b32_e32 v6, 63, v0
	v_cmp_eq_u32_e64 s[0:1], 0, v6
	s_and_saveexec_b64 s[16:17], s[0:1]
; %bb.9:
	v_lshrrev_b32_e32 v6, 2, v0
	v_add_u32_e32 v6, 0, v6
	ds_write2_b64 v6, v[2:3], v[4:5] offset1:1
; %bb.10:
	s_or_b64 exec, exec, s[16:17]
	v_cmp_eq_u32_e64 s[0:1], 0, v0
	s_waitcnt lgkmcnt(0)
	s_barrier
	s_and_saveexec_b64 s[16:17], s[0:1]
	s_cbranch_execz .LBB68_12
; %bb.11:
	v_mov_b32_e32 v22, 0
	ds_read2_b64 v[6:9], v22 offset0:2 offset1:3
	ds_read2_b64 v[10:13], v22 offset0:4 offset1:5
	;; [unrolled: 1-line block ×4, first 2 shown]
	s_waitcnt lgkmcnt(3)
	v_add_f64 v[2:3], v[2:3], v[6:7]
	v_add_f64 v[4:5], v[4:5], v[8:9]
	s_waitcnt lgkmcnt(2)
	v_add_f64 v[2:3], v[2:3], v[10:11]
	v_add_f64 v[6:7], v[4:5], v[12:13]
	s_waitcnt lgkmcnt(1)
	v_add_f64 v[8:9], v[2:3], v[14:15]
	ds_read2_b64 v[2:5], v22 offset0:10 offset1:11
	v_add_f64 v[10:11], v[6:7], v[16:17]
	s_waitcnt lgkmcnt(1)
	v_add_f64 v[12:13], v[8:9], v[18:19]
	ds_read2_b64 v[6:9], v22 offset0:12 offset1:13
	;; [unrolled: 4-line block ×8, first 2 shown]
	v_add_f64 v[12:13], v[14:15], v[12:13]
	s_waitcnt lgkmcnt(1)
	v_add_f64 v[10:11], v[10:11], v[2:3]
	v_add_f64 v[14:15], v[12:13], v[4:5]
	ds_read2_b64 v[2:5], v22 offset0:26 offset1:27
	s_waitcnt lgkmcnt(1)
	v_add_f64 v[16:17], v[10:11], v[6:7]
	ds_read2_b64 v[10:13], v22 offset0:28 offset1:29
	v_add_f64 v[14:15], v[14:15], v[8:9]
	ds_read2_b64 v[6:9], v22 offset0:30 offset1:31
	s_waitcnt lgkmcnt(2)
	v_add_f64 v[2:3], v[16:17], v[2:3]
	v_add_f64 v[4:5], v[14:15], v[4:5]
	s_waitcnt lgkmcnt(1)
	v_add_f64 v[2:3], v[2:3], v[10:11]
	v_add_f64 v[4:5], v[4:5], v[12:13]
	;; [unrolled: 3-line block ×3, first 2 shown]
	ds_write2_b64 v22, v[2:3], v[4:5] offset1:1
.LBB68_12:
	s_or_b64 exec, exec, s[16:17]
	s_waitcnt lgkmcnt(0)
	s_barrier
	s_and_saveexec_b64 s[0:1], vcc
	s_cbranch_execz .LBB68_15
; %bb.13:
	s_mul_i32 s0, s11, s4
	s_mul_hi_u32 s1, s10, s4
	s_add_i32 s1, s1, s0
	s_mul_i32 s0, s10, s4
	s_lshl_b64 s[0:1], s[0:1], 4
	s_add_u32 s0, s8, s0
	s_addc_u32 s1, s9, s1
	v_mov_b32_e32 v9, 0
	ds_read2_b64 v[4:7], v9 offset1:1
	s_load_dwordx4 s[8:11], s[0:1], 0x0
	s_add_i32 s3, s25, s5
	s_lshl_b64 s[0:1], s[2:3], 4
	s_lshl_b64 s[2:3], s[14:15], 4
	s_add_u32 s0, s0, s2
	s_addc_u32 s1, s1, s3
	s_waitcnt lgkmcnt(0)
	v_mul_f64 v[2:3], s[10:11], v[6:7]
	s_add_u32 s0, s12, s0
	v_fma_f64 v[2:3], v[4:5], -s[8:9], -v[2:3]
	v_mul_f64 v[4:5], s[10:11], v[4:5]
	v_lshlrev_b32_e32 v8, 4, v0
	s_addc_u32 s1, s13, s1
	v_fma_f64 v[4:5], s[8:9], v[6:7], -v[4:5]
	v_lshl_add_u64 v[6:7], s[0:1], 0, v[8:9]
	v_add_u32_e32 v8, 0, v8
	v_add_u32_e32 v8, 0x100, v8
	s_mov_b64 s[0:1], 0
	s_mov_b64 s[2:3], 0x400
	;; [unrolled: 1-line block ×3, first 2 shown]
.LBB68_14:                              ; =>This Inner Loop Header: Depth=1
	flat_load_dwordx4 v[10:13], v[6:7]
	ds_read2_b64 v[14:17], v8 offset1:1
	v_lshl_add_u64 v[0:1], v[0:1], 0, s[2:3]
	v_cmp_le_i64_e32 vcc, s[6:7], v[0:1]
	s_or_b64 s[0:1], vcc, s[0:1]
	v_add_u32_e32 v8, 0x4000, v8
	s_waitcnt lgkmcnt(0)
	v_mul_f64 v[18:19], v[4:5], v[16:17]
	v_mul_f64 v[16:17], v[2:3], v[16:17]
	v_fma_f64 v[18:19], v[2:3], v[14:15], -v[18:19]
	v_fmac_f64_e32 v[16:17], v[4:5], v[14:15]
	s_waitcnt vmcnt(0)
	v_add_f64 v[10:11], v[10:11], v[18:19]
	v_add_f64 v[12:13], v[16:17], v[12:13]
	flat_store_dwordx4 v[6:7], v[10:13]
	v_lshl_add_u64 v[6:7], v[6:7], 0, s[4:5]
	s_andn2_b64 exec, exec, s[0:1]
	s_cbranch_execnz .LBB68_14
.LBB68_15:
	s_endpgm
	.section	.rodata,"a",@progbits
	.p2align	6, 0x0
	.amdhsa_kernel _ZN9rocsolver6v33100L16larf_left_kernelILi1024E19rocblas_complex_numIdElPKPS3_EEvT1_S7_T2_lS7_lPKT0_lS8_lS7_l
		.amdhsa_group_segment_fixed_size 0
		.amdhsa_private_segment_fixed_size 0
		.amdhsa_kernarg_size 96
		.amdhsa_user_sgpr_count 2
		.amdhsa_user_sgpr_dispatch_ptr 0
		.amdhsa_user_sgpr_queue_ptr 0
		.amdhsa_user_sgpr_kernarg_segment_ptr 1
		.amdhsa_user_sgpr_dispatch_id 0
		.amdhsa_user_sgpr_kernarg_preload_length 0
		.amdhsa_user_sgpr_kernarg_preload_offset 0
		.amdhsa_user_sgpr_private_segment_size 0
		.amdhsa_uses_dynamic_stack 0
		.amdhsa_enable_private_segment 0
		.amdhsa_system_sgpr_workgroup_id_x 1
		.amdhsa_system_sgpr_workgroup_id_y 1
		.amdhsa_system_sgpr_workgroup_id_z 1
		.amdhsa_system_sgpr_workgroup_info 0
		.amdhsa_system_vgpr_workitem_id 0
		.amdhsa_next_free_vgpr 23
		.amdhsa_next_free_sgpr 28
		.amdhsa_accum_offset 24
		.amdhsa_reserve_vcc 1
		.amdhsa_float_round_mode_32 0
		.amdhsa_float_round_mode_16_64 0
		.amdhsa_float_denorm_mode_32 3
		.amdhsa_float_denorm_mode_16_64 3
		.amdhsa_dx10_clamp 1
		.amdhsa_ieee_mode 1
		.amdhsa_fp16_overflow 0
		.amdhsa_tg_split 0
		.amdhsa_exception_fp_ieee_invalid_op 0
		.amdhsa_exception_fp_denorm_src 0
		.amdhsa_exception_fp_ieee_div_zero 0
		.amdhsa_exception_fp_ieee_overflow 0
		.amdhsa_exception_fp_ieee_underflow 0
		.amdhsa_exception_fp_ieee_inexact 0
		.amdhsa_exception_int_div_zero 0
	.end_amdhsa_kernel
	.section	.text._ZN9rocsolver6v33100L16larf_left_kernelILi1024E19rocblas_complex_numIdElPKPS3_EEvT1_S7_T2_lS7_lPKT0_lS8_lS7_l,"axG",@progbits,_ZN9rocsolver6v33100L16larf_left_kernelILi1024E19rocblas_complex_numIdElPKPS3_EEvT1_S7_T2_lS7_lPKT0_lS8_lS7_l,comdat
.Lfunc_end68:
	.size	_ZN9rocsolver6v33100L16larf_left_kernelILi1024E19rocblas_complex_numIdElPKPS3_EEvT1_S7_T2_lS7_lPKT0_lS8_lS7_l, .Lfunc_end68-_ZN9rocsolver6v33100L16larf_left_kernelILi1024E19rocblas_complex_numIdElPKPS3_EEvT1_S7_T2_lS7_lPKT0_lS8_lS7_l
                                        ; -- End function
	.set _ZN9rocsolver6v33100L16larf_left_kernelILi1024E19rocblas_complex_numIdElPKPS3_EEvT1_S7_T2_lS7_lPKT0_lS8_lS7_l.num_vgpr, 23
	.set _ZN9rocsolver6v33100L16larf_left_kernelILi1024E19rocblas_complex_numIdElPKPS3_EEvT1_S7_T2_lS7_lPKT0_lS8_lS7_l.num_agpr, 0
	.set _ZN9rocsolver6v33100L16larf_left_kernelILi1024E19rocblas_complex_numIdElPKPS3_EEvT1_S7_T2_lS7_lPKT0_lS8_lS7_l.numbered_sgpr, 28
	.set _ZN9rocsolver6v33100L16larf_left_kernelILi1024E19rocblas_complex_numIdElPKPS3_EEvT1_S7_T2_lS7_lPKT0_lS8_lS7_l.num_named_barrier, 0
	.set _ZN9rocsolver6v33100L16larf_left_kernelILi1024E19rocblas_complex_numIdElPKPS3_EEvT1_S7_T2_lS7_lPKT0_lS8_lS7_l.private_seg_size, 0
	.set _ZN9rocsolver6v33100L16larf_left_kernelILi1024E19rocblas_complex_numIdElPKPS3_EEvT1_S7_T2_lS7_lPKT0_lS8_lS7_l.uses_vcc, 1
	.set _ZN9rocsolver6v33100L16larf_left_kernelILi1024E19rocblas_complex_numIdElPKPS3_EEvT1_S7_T2_lS7_lPKT0_lS8_lS7_l.uses_flat_scratch, 0
	.set _ZN9rocsolver6v33100L16larf_left_kernelILi1024E19rocblas_complex_numIdElPKPS3_EEvT1_S7_T2_lS7_lPKT0_lS8_lS7_l.has_dyn_sized_stack, 0
	.set _ZN9rocsolver6v33100L16larf_left_kernelILi1024E19rocblas_complex_numIdElPKPS3_EEvT1_S7_T2_lS7_lPKT0_lS8_lS7_l.has_recursion, 0
	.set _ZN9rocsolver6v33100L16larf_left_kernelILi1024E19rocblas_complex_numIdElPKPS3_EEvT1_S7_T2_lS7_lPKT0_lS8_lS7_l.has_indirect_call, 0
	.section	.AMDGPU.csdata,"",@progbits
; Kernel info:
; codeLenInByte = 1808
; TotalNumSgprs: 34
; NumVgprs: 23
; NumAgprs: 0
; TotalNumVgprs: 23
; ScratchSize: 0
; MemoryBound: 0
; FloatMode: 240
; IeeeMode: 1
; LDSByteSize: 0 bytes/workgroup (compile time only)
; SGPRBlocks: 4
; VGPRBlocks: 2
; NumSGPRsForWavesPerEU: 34
; NumVGPRsForWavesPerEU: 23
; AccumOffset: 24
; Occupancy: 8
; WaveLimiterHint : 0
; COMPUTE_PGM_RSRC2:SCRATCH_EN: 0
; COMPUTE_PGM_RSRC2:USER_SGPR: 2
; COMPUTE_PGM_RSRC2:TRAP_HANDLER: 0
; COMPUTE_PGM_RSRC2:TGID_X_EN: 1
; COMPUTE_PGM_RSRC2:TGID_Y_EN: 1
; COMPUTE_PGM_RSRC2:TGID_Z_EN: 1
; COMPUTE_PGM_RSRC2:TIDIG_COMP_CNT: 0
; COMPUTE_PGM_RSRC3_GFX90A:ACCUM_OFFSET: 5
; COMPUTE_PGM_RSRC3_GFX90A:TG_SPLIT: 0
	.section	.text._ZN9rocsolver6v33100L17larf_right_kernelILi1024E19rocblas_complex_numIdElPKPS3_EEvT1_S7_T2_lS7_lPKT0_lS8_lS7_l,"axG",@progbits,_ZN9rocsolver6v33100L17larf_right_kernelILi1024E19rocblas_complex_numIdElPKPS3_EEvT1_S7_T2_lS7_lPKT0_lS8_lS7_l,comdat
	.globl	_ZN9rocsolver6v33100L17larf_right_kernelILi1024E19rocblas_complex_numIdElPKPS3_EEvT1_S7_T2_lS7_lPKT0_lS8_lS7_l ; -- Begin function _ZN9rocsolver6v33100L17larf_right_kernelILi1024E19rocblas_complex_numIdElPKPS3_EEvT1_S7_T2_lS7_lPKT0_lS8_lS7_l
	.p2align	8
	.type	_ZN9rocsolver6v33100L17larf_right_kernelILi1024E19rocblas_complex_numIdElPKPS3_EEvT1_S7_T2_lS7_lPKT0_lS8_lS7_l,@function
_ZN9rocsolver6v33100L17larf_right_kernelILi1024E19rocblas_complex_numIdElPKPS3_EEvT1_S7_T2_lS7_lPKT0_lS8_lS7_l: ; @_ZN9rocsolver6v33100L17larf_right_kernelILi1024E19rocblas_complex_numIdElPKPS3_EEvT1_S7_T2_lS7_lPKT0_lS8_lS7_l
; %bb.0:
	s_mov_b32 s2, s3
	s_load_dwordx8 s[8:15], s[0:1], 0x8
	s_load_dwordx8 s[16:23], s[0:1], 0x30
	s_load_dwordx2 s[6:7], s[0:1], 0x50
	s_mov_b32 s3, 0
	s_mov_b32 s5, s3
	s_lshl_b64 s[24:25], s[4:5], 3
	s_waitcnt lgkmcnt(0)
	s_add_u32 s0, s10, s24
	s_addc_u32 s1, s11, s25
	s_add_u32 s10, s20, s24
	s_addc_u32 s11, s21, s25
	s_load_dwordx2 s[10:11], s[10:11], 0x0
	v_cmp_gt_i64_e64 s[20:21], s[14:15], 0
	s_mov_b64 s[24:25], 0
	s_and_b64 vcc, exec, s[20:21]
	s_cbranch_vccnz .LBB69_2
; %bb.1:
	s_sub_u32 s5, 1, s8
	s_subb_u32 s20, 0, s9
	s_mul_i32 s20, s14, s20
	s_mul_hi_u32 s21, s14, s5
	s_add_i32 s20, s21, s20
	s_mul_i32 s21, s15, s5
	s_add_i32 s25, s20, s21
	s_mul_i32 s24, s14, s5
.LBB69_2:
	v_mov_b32_e32 v1, 0
	v_cmp_gt_i64_e32 vcc, s[8:9], v[0:1]
	v_mov_b64_e32 v[2:3], 0
	v_lshl_add_u32 v10, v0, 4, 0
	v_mov_b64_e32 v[4:5], 0
	s_and_saveexec_b64 s[20:21], vcc
	s_cbranch_execz .LBB69_8
; %bb.3:
	s_load_dwordx2 s[0:1], s[0:1], 0x0
	s_lshl_b64 s[24:25], s[24:25], 4
	s_lshl_b64 s[12:13], s[12:13], 4
	v_mad_u64_u32 v[2:3], s[26:27], s14, v0, 0
	s_waitcnt lgkmcnt(0)
	s_add_u32 s0, s0, s12
	v_mov_b32_e32 v4, v3
	s_addc_u32 s1, s1, s13
	v_mad_u64_u32 v[4:5], s[26:27], s15, v0, v[4:5]
	s_add_u32 s0, s0, s24
	v_mov_b32_e32 v3, v4
	s_addc_u32 s1, s1, s25
	v_add_u32_e32 v11, 0x100, v10
	v_lshl_add_u64 v[2:3], v[2:3], 4, s[0:1]
	s_lshl_b64 s[12:13], s[14:15], 14
	s_mov_b64 s[14:15], 0
	s_mov_b64 s[24:25], 0x400
	v_mov_b32_e32 v6, v11
	v_mov_b64_e32 v[4:5], v[0:1]
.LBB69_4:                               ; =>This Inner Loop Header: Depth=1
	flat_load_dwordx4 v[12:15], v[2:3]
	v_lshl_add_u64 v[4:5], v[4:5], 0, s[24:25]
	v_cmp_le_i64_e64 s[0:1], s[8:9], v[4:5]
	v_lshl_add_u64 v[2:3], v[2:3], 0, s[12:13]
	s_or_b64 s[14:15], s[0:1], s[14:15]
	s_waitcnt vmcnt(0) lgkmcnt(0)
	ds_write2_b64 v6, v[12:13], v[14:15] offset1:1
	v_add_u32_e32 v6, 0x4000, v6
	s_andn2_b64 exec, exec, s[14:15]
	s_cbranch_execnz .LBB69_4
; %bb.5:
	s_or_b64 exec, exec, s[14:15]
	v_mad_u64_u32 v[2:3], s[0:1], s6, v0, 0
	v_mov_b32_e32 v4, v3
	v_mad_u64_u32 v[4:5], s[0:1], s7, v0, v[4:5]
	s_lshl_b64 s[0:1], s[22:23], 4
	s_lshl_b64 s[12:13], s[2:3], 4
	s_add_u32 s5, s10, s12
	s_addc_u32 s12, s11, s13
	s_add_u32 s0, s5, s0
	v_mov_b32_e32 v3, v4
	s_addc_u32 s1, s12, s1
	v_lshl_add_u64 v[6:7], v[2:3], 4, s[0:1]
	s_lshl_b64 s[12:13], s[6:7], 14
	v_mov_b64_e32 v[2:3], 0
	s_mov_b64 s[14:15], 0
	s_mov_b64 s[24:25], 0x400
	v_mov_b64_e32 v[8:9], v[0:1]
	v_mov_b64_e32 v[4:5], 0
.LBB69_6:                               ; =>This Inner Loop Header: Depth=1
	flat_load_dwordx4 v[12:15], v[6:7]
	ds_read2_b64 v[16:19], v11 offset1:1
	v_lshl_add_u64 v[8:9], v[8:9], 0, s[24:25]
	v_cmp_le_i64_e64 s[0:1], s[8:9], v[8:9]
	v_lshl_add_u64 v[6:7], v[6:7], 0, s[12:13]
	v_add_u32_e32 v11, 0x4000, v11
	s_or_b64 s[14:15], s[0:1], s[14:15]
	s_waitcnt vmcnt(0) lgkmcnt(0)
	v_mul_f64 v[20:21], v[18:19], v[14:15]
	v_mul_f64 v[14:15], v[16:17], v[14:15]
	v_fma_f64 v[16:17], v[16:17], v[12:13], -v[20:21]
	v_fmac_f64_e32 v[14:15], v[18:19], v[12:13]
	v_add_f64 v[4:5], v[4:5], v[16:17]
	v_add_f64 v[2:3], v[2:3], v[14:15]
	s_andn2_b64 exec, exec, s[14:15]
	s_cbranch_execnz .LBB69_6
; %bb.7:
	s_or_b64 exec, exec, s[14:15]
.LBB69_8:
	s_or_b64 exec, exec, s[20:21]
	v_mbcnt_lo_u32_b32 v6, -1, 0
	v_mbcnt_hi_u32_b32 v11, -1, v6
	v_and_b32_e32 v12, 63, v11
	v_cmp_ne_u32_e64 s[0:1], 63, v12
	s_nop 1
	v_addc_co_u32_e64 v6, s[0:1], 0, v11, s[0:1]
	v_lshlrev_b32_e32 v9, 2, v6
	ds_bpermute_b32 v6, v9, v4
	ds_bpermute_b32 v7, v9, v5
	;; [unrolled: 1-line block ×4, first 2 shown]
	v_cmp_gt_u32_e64 s[0:1], 62, v12
	s_waitcnt lgkmcnt(0)
	v_add_f64 v[4:5], v[4:5], v[6:7]
	v_cndmask_b32_e64 v6, 0, 2, s[0:1]
	v_add_f64 v[2:3], v[2:3], v[8:9]
	v_add_lshl_u32 v9, v6, v11, 2
	ds_bpermute_b32 v6, v9, v4
	ds_bpermute_b32 v7, v9, v5
	ds_bpermute_b32 v8, v9, v2
	ds_bpermute_b32 v9, v9, v3
	v_cmp_gt_u32_e64 s[0:1], 60, v12
	s_waitcnt lgkmcnt(2)
	v_add_f64 v[4:5], v[4:5], v[6:7]
	v_cndmask_b32_e64 v6, 0, 4, s[0:1]
	s_waitcnt lgkmcnt(0)
	v_add_f64 v[2:3], v[2:3], v[8:9]
	v_add_lshl_u32 v9, v6, v11, 2
	ds_bpermute_b32 v6, v9, v4
	ds_bpermute_b32 v7, v9, v5
	ds_bpermute_b32 v8, v9, v2
	ds_bpermute_b32 v9, v9, v3
	v_cmp_gt_u32_e64 s[0:1], 56, v12
	s_waitcnt lgkmcnt(2)
	v_add_f64 v[4:5], v[4:5], v[6:7]
	v_cndmask_b32_e64 v6, 0, 8, s[0:1]
	s_waitcnt lgkmcnt(0)
	;; [unrolled: 11-line block ×3, first 2 shown]
	v_add_f64 v[2:3], v[2:3], v[8:9]
	v_add_lshl_u32 v9, v6, v11, 2
	ds_bpermute_b32 v6, v9, v4
	ds_bpermute_b32 v7, v9, v5
	;; [unrolled: 1-line block ×4, first 2 shown]
	s_waitcnt lgkmcnt(2)
	v_add_f64 v[4:5], v[4:5], v[6:7]
	s_waitcnt lgkmcnt(0)
	v_add_f64 v[6:7], v[2:3], v[8:9]
	v_mov_b32_e32 v2, 0x80
	v_lshl_or_b32 v9, v11, 2, v2
	ds_bpermute_b32 v2, v9, v4
	ds_bpermute_b32 v3, v9, v5
	;; [unrolled: 1-line block ×4, first 2 shown]
	s_waitcnt lgkmcnt(2)
	v_add_f64 v[2:3], v[4:5], v[2:3]
	s_waitcnt lgkmcnt(0)
	v_add_f64 v[4:5], v[6:7], v[8:9]
	v_and_b32_e32 v6, 63, v0
	v_cmp_eq_u32_e64 s[0:1], 0, v6
	s_and_saveexec_b64 s[12:13], s[0:1]
; %bb.9:
	v_lshrrev_b32_e32 v6, 2, v0
	v_add_u32_e32 v6, 0, v6
	ds_write2_b64 v6, v[2:3], v[4:5] offset1:1
; %bb.10:
	s_or_b64 exec, exec, s[12:13]
	v_cmp_eq_u32_e64 s[0:1], 0, v0
	s_waitcnt lgkmcnt(0)
	s_barrier
	s_and_saveexec_b64 s[12:13], s[0:1]
	s_cbranch_execz .LBB69_12
; %bb.11:
	v_mov_b32_e32 v11, 0
	ds_read2_b64 v[6:9], v11 offset0:2 offset1:3
	ds_read2_b64 v[12:15], v11 offset0:4 offset1:5
	;; [unrolled: 1-line block ×4, first 2 shown]
	s_waitcnt lgkmcnt(3)
	v_add_f64 v[2:3], v[2:3], v[6:7]
	v_add_f64 v[4:5], v[4:5], v[8:9]
	s_waitcnt lgkmcnt(2)
	v_add_f64 v[2:3], v[2:3], v[12:13]
	v_add_f64 v[6:7], v[4:5], v[14:15]
	s_waitcnt lgkmcnt(1)
	v_add_f64 v[8:9], v[2:3], v[16:17]
	ds_read2_b64 v[2:5], v11 offset0:10 offset1:11
	v_add_f64 v[12:13], v[6:7], v[18:19]
	s_waitcnt lgkmcnt(1)
	v_add_f64 v[14:15], v[8:9], v[20:21]
	ds_read2_b64 v[6:9], v11 offset0:12 offset1:13
	;; [unrolled: 4-line block ×8, first 2 shown]
	v_add_f64 v[14:15], v[16:17], v[14:15]
	s_waitcnt lgkmcnt(1)
	v_add_f64 v[12:13], v[12:13], v[2:3]
	v_add_f64 v[16:17], v[14:15], v[4:5]
	ds_read2_b64 v[2:5], v11 offset0:26 offset1:27
	s_waitcnt lgkmcnt(1)
	v_add_f64 v[18:19], v[12:13], v[6:7]
	ds_read2_b64 v[12:15], v11 offset0:28 offset1:29
	v_add_f64 v[16:17], v[16:17], v[8:9]
	ds_read2_b64 v[6:9], v11 offset0:30 offset1:31
	s_waitcnt lgkmcnt(2)
	v_add_f64 v[2:3], v[18:19], v[2:3]
	v_add_f64 v[4:5], v[16:17], v[4:5]
	s_waitcnt lgkmcnt(1)
	v_add_f64 v[2:3], v[2:3], v[12:13]
	v_add_f64 v[4:5], v[4:5], v[14:15]
	;; [unrolled: 3-line block ×3, first 2 shown]
	ds_write2_b64 v11, v[2:3], v[4:5] offset1:1
.LBB69_12:
	s_or_b64 exec, exec, s[12:13]
	s_waitcnt lgkmcnt(0)
	s_barrier
	s_and_saveexec_b64 s[0:1], vcc
	s_cbranch_execz .LBB69_15
; %bb.13:
	s_mul_i32 s0, s19, s4
	s_mul_hi_u32 s1, s18, s4
	s_add_i32 s1, s1, s0
	s_mul_i32 s0, s18, s4
	s_lshl_b64 s[0:1], s[0:1], 4
	s_add_u32 s0, s16, s0
	s_addc_u32 s1, s17, s1
	v_mov_b32_e32 v2, 0
	ds_read2_b64 v[4:7], v2 offset1:1
	s_load_dwordx4 s[12:15], s[0:1], 0x0
	s_lshl_b64 s[2:3], s[2:3], 4
	s_mov_b64 s[4:5], 0x400
	s_waitcnt lgkmcnt(0)
	v_mul_f64 v[2:3], s[12:13], v[4:5]
	v_fma_f64 v[2:3], s[14:15], v[6:7], -v[2:3]
	v_mul_f64 v[6:7], s[12:13], v[6:7]
	v_fma_f64 v[4:5], v[4:5], -s[14:15], -v[6:7]
	v_mad_u64_u32 v[6:7], s[0:1], s6, v0, 0
	v_mov_b32_e32 v8, v7
	v_mad_u64_u32 v[8:9], s[0:1], s7, v0, v[8:9]
	s_lshl_b64 s[0:1], s[22:23], 4
	s_add_u32 s2, s10, s2
	s_addc_u32 s3, s11, s3
	s_add_u32 s0, s2, s0
	v_mov_b32_e32 v7, v8
	s_addc_u32 s1, s3, s1
	v_lshl_add_u64 v[6:7], v[6:7], 4, s[0:1]
	s_lshl_b64 s[0:1], s[6:7], 14
	v_add_u32_e32 v8, 0x100, v10
	s_mov_b64 s[2:3], 0
.LBB69_14:                              ; =>This Inner Loop Header: Depth=1
	flat_load_dwordx4 v[10:13], v[6:7]
	ds_read2_b64 v[14:17], v8 offset1:1
	v_lshl_add_u64 v[0:1], v[0:1], 0, s[4:5]
	v_cmp_le_i64_e32 vcc, s[8:9], v[0:1]
	s_or_b64 s[2:3], vcc, s[2:3]
	v_add_u32_e32 v8, 0x4000, v8
	s_waitcnt lgkmcnt(0)
	v_mul_f64 v[18:19], v[4:5], v[16:17]
	v_mul_f64 v[16:17], v[2:3], v[16:17]
	v_fmac_f64_e32 v[18:19], v[2:3], v[14:15]
	v_fma_f64 v[14:15], v[4:5], v[14:15], -v[16:17]
	s_waitcnt vmcnt(0)
	v_add_f64 v[10:11], v[10:11], v[18:19]
	v_add_f64 v[12:13], v[14:15], v[12:13]
	flat_store_dwordx4 v[6:7], v[10:13]
	v_lshl_add_u64 v[6:7], v[6:7], 0, s[0:1]
	s_andn2_b64 exec, exec, s[2:3]
	s_cbranch_execnz .LBB69_14
.LBB69_15:
	s_endpgm
	.section	.rodata,"a",@progbits
	.p2align	6, 0x0
	.amdhsa_kernel _ZN9rocsolver6v33100L17larf_right_kernelILi1024E19rocblas_complex_numIdElPKPS3_EEvT1_S7_T2_lS7_lPKT0_lS8_lS7_l
		.amdhsa_group_segment_fixed_size 0
		.amdhsa_private_segment_fixed_size 0
		.amdhsa_kernarg_size 96
		.amdhsa_user_sgpr_count 2
		.amdhsa_user_sgpr_dispatch_ptr 0
		.amdhsa_user_sgpr_queue_ptr 0
		.amdhsa_user_sgpr_kernarg_segment_ptr 1
		.amdhsa_user_sgpr_dispatch_id 0
		.amdhsa_user_sgpr_kernarg_preload_length 0
		.amdhsa_user_sgpr_kernarg_preload_offset 0
		.amdhsa_user_sgpr_private_segment_size 0
		.amdhsa_uses_dynamic_stack 0
		.amdhsa_enable_private_segment 0
		.amdhsa_system_sgpr_workgroup_id_x 1
		.amdhsa_system_sgpr_workgroup_id_y 1
		.amdhsa_system_sgpr_workgroup_id_z 1
		.amdhsa_system_sgpr_workgroup_info 0
		.amdhsa_system_vgpr_workitem_id 0
		.amdhsa_next_free_vgpr 24
		.amdhsa_next_free_sgpr 28
		.amdhsa_accum_offset 24
		.amdhsa_reserve_vcc 1
		.amdhsa_float_round_mode_32 0
		.amdhsa_float_round_mode_16_64 0
		.amdhsa_float_denorm_mode_32 3
		.amdhsa_float_denorm_mode_16_64 3
		.amdhsa_dx10_clamp 1
		.amdhsa_ieee_mode 1
		.amdhsa_fp16_overflow 0
		.amdhsa_tg_split 0
		.amdhsa_exception_fp_ieee_invalid_op 0
		.amdhsa_exception_fp_denorm_src 0
		.amdhsa_exception_fp_ieee_div_zero 0
		.amdhsa_exception_fp_ieee_overflow 0
		.amdhsa_exception_fp_ieee_underflow 0
		.amdhsa_exception_fp_ieee_inexact 0
		.amdhsa_exception_int_div_zero 0
	.end_amdhsa_kernel
	.section	.text._ZN9rocsolver6v33100L17larf_right_kernelILi1024E19rocblas_complex_numIdElPKPS3_EEvT1_S7_T2_lS7_lPKT0_lS8_lS7_l,"axG",@progbits,_ZN9rocsolver6v33100L17larf_right_kernelILi1024E19rocblas_complex_numIdElPKPS3_EEvT1_S7_T2_lS7_lPKT0_lS8_lS7_l,comdat
.Lfunc_end69:
	.size	_ZN9rocsolver6v33100L17larf_right_kernelILi1024E19rocblas_complex_numIdElPKPS3_EEvT1_S7_T2_lS7_lPKT0_lS8_lS7_l, .Lfunc_end69-_ZN9rocsolver6v33100L17larf_right_kernelILi1024E19rocblas_complex_numIdElPKPS3_EEvT1_S7_T2_lS7_lPKT0_lS8_lS7_l
                                        ; -- End function
	.set _ZN9rocsolver6v33100L17larf_right_kernelILi1024E19rocblas_complex_numIdElPKPS3_EEvT1_S7_T2_lS7_lPKT0_lS8_lS7_l.num_vgpr, 24
	.set _ZN9rocsolver6v33100L17larf_right_kernelILi1024E19rocblas_complex_numIdElPKPS3_EEvT1_S7_T2_lS7_lPKT0_lS8_lS7_l.num_agpr, 0
	.set _ZN9rocsolver6v33100L17larf_right_kernelILi1024E19rocblas_complex_numIdElPKPS3_EEvT1_S7_T2_lS7_lPKT0_lS8_lS7_l.numbered_sgpr, 28
	.set _ZN9rocsolver6v33100L17larf_right_kernelILi1024E19rocblas_complex_numIdElPKPS3_EEvT1_S7_T2_lS7_lPKT0_lS8_lS7_l.num_named_barrier, 0
	.set _ZN9rocsolver6v33100L17larf_right_kernelILi1024E19rocblas_complex_numIdElPKPS3_EEvT1_S7_T2_lS7_lPKT0_lS8_lS7_l.private_seg_size, 0
	.set _ZN9rocsolver6v33100L17larf_right_kernelILi1024E19rocblas_complex_numIdElPKPS3_EEvT1_S7_T2_lS7_lPKT0_lS8_lS7_l.uses_vcc, 1
	.set _ZN9rocsolver6v33100L17larf_right_kernelILi1024E19rocblas_complex_numIdElPKPS3_EEvT1_S7_T2_lS7_lPKT0_lS8_lS7_l.uses_flat_scratch, 0
	.set _ZN9rocsolver6v33100L17larf_right_kernelILi1024E19rocblas_complex_numIdElPKPS3_EEvT1_S7_T2_lS7_lPKT0_lS8_lS7_l.has_dyn_sized_stack, 0
	.set _ZN9rocsolver6v33100L17larf_right_kernelILi1024E19rocblas_complex_numIdElPKPS3_EEvT1_S7_T2_lS7_lPKT0_lS8_lS7_l.has_recursion, 0
	.set _ZN9rocsolver6v33100L17larf_right_kernelILi1024E19rocblas_complex_numIdElPKPS3_EEvT1_S7_T2_lS7_lPKT0_lS8_lS7_l.has_indirect_call, 0
	.section	.AMDGPU.csdata,"",@progbits
; Kernel info:
; codeLenInByte = 1804
; TotalNumSgprs: 34
; NumVgprs: 24
; NumAgprs: 0
; TotalNumVgprs: 24
; ScratchSize: 0
; MemoryBound: 0
; FloatMode: 240
; IeeeMode: 1
; LDSByteSize: 0 bytes/workgroup (compile time only)
; SGPRBlocks: 4
; VGPRBlocks: 2
; NumSGPRsForWavesPerEU: 34
; NumVGPRsForWavesPerEU: 24
; AccumOffset: 24
; Occupancy: 8
; WaveLimiterHint : 0
; COMPUTE_PGM_RSRC2:SCRATCH_EN: 0
; COMPUTE_PGM_RSRC2:USER_SGPR: 2
; COMPUTE_PGM_RSRC2:TRAP_HANDLER: 0
; COMPUTE_PGM_RSRC2:TGID_X_EN: 1
; COMPUTE_PGM_RSRC2:TGID_Y_EN: 1
; COMPUTE_PGM_RSRC2:TGID_Z_EN: 1
; COMPUTE_PGM_RSRC2:TIDIG_COMP_CNT: 0
; COMPUTE_PGM_RSRC3_GFX90A:ACCUM_OFFSET: 5
; COMPUTE_PGM_RSRC3_GFX90A:TG_SPLIT: 0
	.section	.text._ZN9rocsolver6v33100L9get_arrayI19rocblas_complex_numIdElEEvPPT_S5_lT0_,"axG",@progbits,_ZN9rocsolver6v33100L9get_arrayI19rocblas_complex_numIdElEEvPPT_S5_lT0_,comdat
	.globl	_ZN9rocsolver6v33100L9get_arrayI19rocblas_complex_numIdElEEvPPT_S5_lT0_ ; -- Begin function _ZN9rocsolver6v33100L9get_arrayI19rocblas_complex_numIdElEEvPPT_S5_lT0_
	.p2align	8
	.type	_ZN9rocsolver6v33100L9get_arrayI19rocblas_complex_numIdElEEvPPT_S5_lT0_,@function
_ZN9rocsolver6v33100L9get_arrayI19rocblas_complex_numIdElEEvPPT_S5_lT0_: ; @_ZN9rocsolver6v33100L9get_arrayI19rocblas_complex_numIdElEEvPPT_S5_lT0_
; %bb.0:
	s_load_dword s3, s[0:1], 0x2c
	s_load_dwordx8 s[4:11], s[0:1], 0x0
	v_mov_b32_e32 v1, 0
	v_mov_b32_e32 v2, s2
	s_waitcnt lgkmcnt(0)
	s_and_b32 s0, s3, 0xffff
	v_mad_u64_u32 v[0:1], s[0:1], s0, v2, v[0:1]
	v_cmp_gt_i64_e32 vcc, s[10:11], v[0:1]
	s_and_saveexec_b64 s[0:1], vcc
	s_cbranch_execz .LBB70_2
; %bb.1:
	v_mul_lo_u32 v8, v1, s8
	v_mul_lo_u32 v9, v0, s9
	v_mad_u64_u32 v[6:7], s[0:1], v0, s8, 0
	v_mov_b32_e32 v2, s4
	v_mov_b32_e32 v3, s5
	;; [unrolled: 1-line block ×4, first 2 shown]
	v_add3_u32 v7, v7, v9, v8
	v_lshl_add_u64 v[4:5], v[6:7], 4, v[4:5]
	v_lshl_add_u64 v[0:1], v[0:1], 3, v[2:3]
	global_store_dwordx2 v[0:1], v[4:5], off
.LBB70_2:
	s_endpgm
	.section	.rodata,"a",@progbits
	.p2align	6, 0x0
	.amdhsa_kernel _ZN9rocsolver6v33100L9get_arrayI19rocblas_complex_numIdElEEvPPT_S5_lT0_
		.amdhsa_group_segment_fixed_size 0
		.amdhsa_private_segment_fixed_size 0
		.amdhsa_kernarg_size 288
		.amdhsa_user_sgpr_count 2
		.amdhsa_user_sgpr_dispatch_ptr 0
		.amdhsa_user_sgpr_queue_ptr 0
		.amdhsa_user_sgpr_kernarg_segment_ptr 1
		.amdhsa_user_sgpr_dispatch_id 0
		.amdhsa_user_sgpr_kernarg_preload_length 0
		.amdhsa_user_sgpr_kernarg_preload_offset 0
		.amdhsa_user_sgpr_private_segment_size 0
		.amdhsa_uses_dynamic_stack 0
		.amdhsa_enable_private_segment 0
		.amdhsa_system_sgpr_workgroup_id_x 1
		.amdhsa_system_sgpr_workgroup_id_y 0
		.amdhsa_system_sgpr_workgroup_id_z 0
		.amdhsa_system_sgpr_workgroup_info 0
		.amdhsa_system_vgpr_workitem_id 0
		.amdhsa_next_free_vgpr 10
		.amdhsa_next_free_sgpr 12
		.amdhsa_accum_offset 12
		.amdhsa_reserve_vcc 1
		.amdhsa_float_round_mode_32 0
		.amdhsa_float_round_mode_16_64 0
		.amdhsa_float_denorm_mode_32 3
		.amdhsa_float_denorm_mode_16_64 3
		.amdhsa_dx10_clamp 1
		.amdhsa_ieee_mode 1
		.amdhsa_fp16_overflow 0
		.amdhsa_tg_split 0
		.amdhsa_exception_fp_ieee_invalid_op 0
		.amdhsa_exception_fp_denorm_src 0
		.amdhsa_exception_fp_ieee_div_zero 0
		.amdhsa_exception_fp_ieee_overflow 0
		.amdhsa_exception_fp_ieee_underflow 0
		.amdhsa_exception_fp_ieee_inexact 0
		.amdhsa_exception_int_div_zero 0
	.end_amdhsa_kernel
	.section	.text._ZN9rocsolver6v33100L9get_arrayI19rocblas_complex_numIdElEEvPPT_S5_lT0_,"axG",@progbits,_ZN9rocsolver6v33100L9get_arrayI19rocblas_complex_numIdElEEvPPT_S5_lT0_,comdat
.Lfunc_end70:
	.size	_ZN9rocsolver6v33100L9get_arrayI19rocblas_complex_numIdElEEvPPT_S5_lT0_, .Lfunc_end70-_ZN9rocsolver6v33100L9get_arrayI19rocblas_complex_numIdElEEvPPT_S5_lT0_
                                        ; -- End function
	.set _ZN9rocsolver6v33100L9get_arrayI19rocblas_complex_numIdElEEvPPT_S5_lT0_.num_vgpr, 10
	.set _ZN9rocsolver6v33100L9get_arrayI19rocblas_complex_numIdElEEvPPT_S5_lT0_.num_agpr, 0
	.set _ZN9rocsolver6v33100L9get_arrayI19rocblas_complex_numIdElEEvPPT_S5_lT0_.numbered_sgpr, 12
	.set _ZN9rocsolver6v33100L9get_arrayI19rocblas_complex_numIdElEEvPPT_S5_lT0_.num_named_barrier, 0
	.set _ZN9rocsolver6v33100L9get_arrayI19rocblas_complex_numIdElEEvPPT_S5_lT0_.private_seg_size, 0
	.set _ZN9rocsolver6v33100L9get_arrayI19rocblas_complex_numIdElEEvPPT_S5_lT0_.uses_vcc, 1
	.set _ZN9rocsolver6v33100L9get_arrayI19rocblas_complex_numIdElEEvPPT_S5_lT0_.uses_flat_scratch, 0
	.set _ZN9rocsolver6v33100L9get_arrayI19rocblas_complex_numIdElEEvPPT_S5_lT0_.has_dyn_sized_stack, 0
	.set _ZN9rocsolver6v33100L9get_arrayI19rocblas_complex_numIdElEEvPPT_S5_lT0_.has_recursion, 0
	.set _ZN9rocsolver6v33100L9get_arrayI19rocblas_complex_numIdElEEvPPT_S5_lT0_.has_indirect_call, 0
	.section	.AMDGPU.csdata,"",@progbits
; Kernel info:
; codeLenInByte = 132
; TotalNumSgprs: 18
; NumVgprs: 10
; NumAgprs: 0
; TotalNumVgprs: 10
; ScratchSize: 0
; MemoryBound: 0
; FloatMode: 240
; IeeeMode: 1
; LDSByteSize: 0 bytes/workgroup (compile time only)
; SGPRBlocks: 2
; VGPRBlocks: 1
; NumSGPRsForWavesPerEU: 18
; NumVGPRsForWavesPerEU: 10
; AccumOffset: 12
; Occupancy: 8
; WaveLimiterHint : 0
; COMPUTE_PGM_RSRC2:SCRATCH_EN: 0
; COMPUTE_PGM_RSRC2:USER_SGPR: 2
; COMPUTE_PGM_RSRC2:TRAP_HANDLER: 0
; COMPUTE_PGM_RSRC2:TGID_X_EN: 1
; COMPUTE_PGM_RSRC2:TGID_Y_EN: 0
; COMPUTE_PGM_RSRC2:TGID_Z_EN: 0
; COMPUTE_PGM_RSRC2:TIDIG_COMP_CNT: 0
; COMPUTE_PGM_RSRC3_GFX90A:ACCUM_OFFSET: 2
; COMPUTE_PGM_RSRC3_GFX90A:TG_SPLIT: 0
	.section	.text._ZN9rocsolver6v33100L12restore_diagI19rocblas_complex_numIdEldPKPS3_EEvPT1_llT2_lT0_lSA_,"axG",@progbits,_ZN9rocsolver6v33100L12restore_diagI19rocblas_complex_numIdEldPKPS3_EEvPT1_llT2_lT0_lSA_,comdat
	.globl	_ZN9rocsolver6v33100L12restore_diagI19rocblas_complex_numIdEldPKPS3_EEvPT1_llT2_lT0_lSA_ ; -- Begin function _ZN9rocsolver6v33100L12restore_diagI19rocblas_complex_numIdEldPKPS3_EEvPT1_llT2_lT0_lSA_
	.p2align	8
	.type	_ZN9rocsolver6v33100L12restore_diagI19rocblas_complex_numIdEldPKPS3_EEvPT1_llT2_lT0_lSA_,@function
_ZN9rocsolver6v33100L12restore_diagI19rocblas_complex_numIdEldPKPS3_EEvPT1_llT2_lT0_lSA_: ; @_ZN9rocsolver6v33100L12restore_diagI19rocblas_complex_numIdEldPKPS3_EEvPT1_llT2_lT0_lSA_
; %bb.0:
	s_load_dword s6, s[0:1], 0x4c
	s_load_dwordx2 s[4:5], s[0:1], 0x38
	v_bfe_u32 v0, v0, 10, 10
	v_mov_b32_e32 v3, 0
	s_waitcnt lgkmcnt(0)
	s_lshr_b32 s6, s6, 16
	s_mul_i32 s3, s3, s6
	v_add_u32_e32 v2, s3, v0
	v_cmp_gt_i64_e32 vcc, s[4:5], v[2:3]
	s_and_saveexec_b64 s[4:5], vcc
	s_cbranch_execz .LBB71_2
; %bb.1:
	s_load_dwordx8 s[8:15], s[0:1], 0x0
	s_load_dwordx4 s[4:7], s[0:1], 0x20
	s_mov_b32 s3, 0
	s_lshl_b64 s[0:1], s[2:3], 3
	s_waitcnt lgkmcnt(0)
	s_add_u32 s0, s14, s0
	s_addc_u32 s1, s15, s1
	s_load_dwordx2 s[0:1], s[0:1], 0x0
	s_lshl_b64 s[4:5], s[4:5], 4
	s_mul_i32 s3, s13, s2
	s_mul_hi_u32 s13, s12, s2
	s_mul_i32 s2, s12, s2
	s_waitcnt lgkmcnt(0)
	s_add_u32 s0, s0, s4
	s_addc_u32 s1, s1, s5
	s_add_i32 s3, s13, s3
	s_lshl_b64 s[2:3], s[2:3], 3
	s_add_u32 s4, s8, s2
	s_addc_u32 s5, s9, s3
	s_lshl_b64 s[2:3], s[10:11], 3
	s_add_u32 s2, s4, s2
	s_addc_u32 s3, s5, s3
	v_lshl_add_u64 v[0:1], v[2:3], 3, s[2:3]
	global_load_dwordx2 v[0:1], v[0:1], off
	v_mad_u64_u32 v[4:5], s[2:3], v2, s6, v[2:3]
	v_mov_b32_e32 v6, v5
	v_mad_u64_u32 v[6:7], s[2:3], v2, s7, v[6:7]
	v_mov_b32_e32 v5, v6
	v_lshl_add_u64 v[4:5], v[4:5], 4, s[0:1]
	v_mov_b32_e32 v2, v3
	s_waitcnt vmcnt(0)
	flat_store_dwordx4 v[4:5], v[0:3]
.LBB71_2:
	s_endpgm
	.section	.rodata,"a",@progbits
	.p2align	6, 0x0
	.amdhsa_kernel _ZN9rocsolver6v33100L12restore_diagI19rocblas_complex_numIdEldPKPS3_EEvPT1_llT2_lT0_lSA_
		.amdhsa_group_segment_fixed_size 0
		.amdhsa_private_segment_fixed_size 0
		.amdhsa_kernarg_size 320
		.amdhsa_user_sgpr_count 2
		.amdhsa_user_sgpr_dispatch_ptr 0
		.amdhsa_user_sgpr_queue_ptr 0
		.amdhsa_user_sgpr_kernarg_segment_ptr 1
		.amdhsa_user_sgpr_dispatch_id 0
		.amdhsa_user_sgpr_kernarg_preload_length 0
		.amdhsa_user_sgpr_kernarg_preload_offset 0
		.amdhsa_user_sgpr_private_segment_size 0
		.amdhsa_uses_dynamic_stack 0
		.amdhsa_enable_private_segment 0
		.amdhsa_system_sgpr_workgroup_id_x 1
		.amdhsa_system_sgpr_workgroup_id_y 1
		.amdhsa_system_sgpr_workgroup_id_z 0
		.amdhsa_system_sgpr_workgroup_info 0
		.amdhsa_system_vgpr_workitem_id 1
		.amdhsa_next_free_vgpr 8
		.amdhsa_next_free_sgpr 16
		.amdhsa_accum_offset 8
		.amdhsa_reserve_vcc 1
		.amdhsa_float_round_mode_32 0
		.amdhsa_float_round_mode_16_64 0
		.amdhsa_float_denorm_mode_32 3
		.amdhsa_float_denorm_mode_16_64 3
		.amdhsa_dx10_clamp 1
		.amdhsa_ieee_mode 1
		.amdhsa_fp16_overflow 0
		.amdhsa_tg_split 0
		.amdhsa_exception_fp_ieee_invalid_op 0
		.amdhsa_exception_fp_denorm_src 0
		.amdhsa_exception_fp_ieee_div_zero 0
		.amdhsa_exception_fp_ieee_overflow 0
		.amdhsa_exception_fp_ieee_underflow 0
		.amdhsa_exception_fp_ieee_inexact 0
		.amdhsa_exception_int_div_zero 0
	.end_amdhsa_kernel
	.section	.text._ZN9rocsolver6v33100L12restore_diagI19rocblas_complex_numIdEldPKPS3_EEvPT1_llT2_lT0_lSA_,"axG",@progbits,_ZN9rocsolver6v33100L12restore_diagI19rocblas_complex_numIdEldPKPS3_EEvPT1_llT2_lT0_lSA_,comdat
.Lfunc_end71:
	.size	_ZN9rocsolver6v33100L12restore_diagI19rocblas_complex_numIdEldPKPS3_EEvPT1_llT2_lT0_lSA_, .Lfunc_end71-_ZN9rocsolver6v33100L12restore_diagI19rocblas_complex_numIdEldPKPS3_EEvPT1_llT2_lT0_lSA_
                                        ; -- End function
	.set _ZN9rocsolver6v33100L12restore_diagI19rocblas_complex_numIdEldPKPS3_EEvPT1_llT2_lT0_lSA_.num_vgpr, 8
	.set _ZN9rocsolver6v33100L12restore_diagI19rocblas_complex_numIdEldPKPS3_EEvPT1_llT2_lT0_lSA_.num_agpr, 0
	.set _ZN9rocsolver6v33100L12restore_diagI19rocblas_complex_numIdEldPKPS3_EEvPT1_llT2_lT0_lSA_.numbered_sgpr, 16
	.set _ZN9rocsolver6v33100L12restore_diagI19rocblas_complex_numIdEldPKPS3_EEvPT1_llT2_lT0_lSA_.num_named_barrier, 0
	.set _ZN9rocsolver6v33100L12restore_diagI19rocblas_complex_numIdEldPKPS3_EEvPT1_llT2_lT0_lSA_.private_seg_size, 0
	.set _ZN9rocsolver6v33100L12restore_diagI19rocblas_complex_numIdEldPKPS3_EEvPT1_llT2_lT0_lSA_.uses_vcc, 1
	.set _ZN9rocsolver6v33100L12restore_diagI19rocblas_complex_numIdEldPKPS3_EEvPT1_llT2_lT0_lSA_.uses_flat_scratch, 0
	.set _ZN9rocsolver6v33100L12restore_diagI19rocblas_complex_numIdEldPKPS3_EEvPT1_llT2_lT0_lSA_.has_dyn_sized_stack, 0
	.set _ZN9rocsolver6v33100L12restore_diagI19rocblas_complex_numIdEldPKPS3_EEvPT1_llT2_lT0_lSA_.has_recursion, 0
	.set _ZN9rocsolver6v33100L12restore_diagI19rocblas_complex_numIdEldPKPS3_EEvPT1_llT2_lT0_lSA_.has_indirect_call, 0
	.section	.AMDGPU.csdata,"",@progbits
; Kernel info:
; codeLenInByte = 224
; TotalNumSgprs: 22
; NumVgprs: 8
; NumAgprs: 0
; TotalNumVgprs: 8
; ScratchSize: 0
; MemoryBound: 0
; FloatMode: 240
; IeeeMode: 1
; LDSByteSize: 0 bytes/workgroup (compile time only)
; SGPRBlocks: 2
; VGPRBlocks: 0
; NumSGPRsForWavesPerEU: 22
; NumVGPRsForWavesPerEU: 8
; AccumOffset: 8
; Occupancy: 8
; WaveLimiterHint : 1
; COMPUTE_PGM_RSRC2:SCRATCH_EN: 0
; COMPUTE_PGM_RSRC2:USER_SGPR: 2
; COMPUTE_PGM_RSRC2:TRAP_HANDLER: 0
; COMPUTE_PGM_RSRC2:TGID_X_EN: 1
; COMPUTE_PGM_RSRC2:TGID_Y_EN: 1
; COMPUTE_PGM_RSRC2:TGID_Z_EN: 0
; COMPUTE_PGM_RSRC2:TIDIG_COMP_CNT: 1
; COMPUTE_PGM_RSRC3_GFX90A:ACCUM_OFFSET: 1
; COMPUTE_PGM_RSRC3_GFX90A:TG_SPLIT: 0
	.section	.AMDGPU.gpr_maximums,"",@progbits
	.set amdgpu.max_num_vgpr, 0
	.set amdgpu.max_num_agpr, 0
	.set amdgpu.max_num_sgpr, 0
	.section	.AMDGPU.csdata,"",@progbits
	.type	__hip_cuid_9557c8a3c92b4029,@object ; @__hip_cuid_9557c8a3c92b4029
	.section	.bss,"aw",@nobits
	.globl	__hip_cuid_9557c8a3c92b4029
__hip_cuid_9557c8a3c92b4029:
	.byte	0                               ; 0x0
	.size	__hip_cuid_9557c8a3c92b4029, 1

	.ident	"AMD clang version 22.0.0git (https://github.com/RadeonOpenCompute/llvm-project roc-7.2.4 26084 f58b06dce1f9c15707c5f808fd002e18c2accf7e)"
	.section	".note.GNU-stack","",@progbits
	.addrsig
	.addrsig_sym __hip_cuid_9557c8a3c92b4029
	.amdgpu_metadata
---
amdhsa.kernels:
  - .agpr_count:     0
    .args:
      - .address_space:  global
        .offset:         0
        .size:           8
        .value_kind:     global_buffer
      - .offset:         8
        .size:           4
        .value_kind:     by_value
      - .offset:         12
        .size:           4
        .value_kind:     by_value
    .group_segment_fixed_size: 0
    .kernarg_segment_align: 8
    .kernarg_segment_size: 16
    .language:       OpenCL C
    .language_version:
      - 2
      - 0
    .max_flat_workgroup_size: 32
    .name:           _ZN9rocsolver6v33100L6iota_nIfEEvPT_jS2_
    .private_segment_fixed_size: 0
    .sgpr_count:     12
    .sgpr_spill_count: 0
    .symbol:         _ZN9rocsolver6v33100L6iota_nIfEEvPT_jS2_.kd
    .uniform_work_group_size: 1
    .uses_dynamic_stack: false
    .vgpr_count:     2
    .vgpr_spill_count: 0
    .wavefront_size: 64
  - .agpr_count:     0
    .args:
      - .offset:         0
        .size:           4
        .value_kind:     by_value
      - .offset:         4
        .size:           4
        .value_kind:     by_value
      - .address_space:  global
        .offset:         8
        .size:           8
        .value_kind:     global_buffer
      - .offset:         16
        .size:           8
        .value_kind:     by_value
      - .offset:         24
        .size:           4
        .value_kind:     by_value
      - .offset:         32
        .size:           8
        .value_kind:     by_value
      - .address_space:  global
        .offset:         40
        .size:           8
        .value_kind:     global_buffer
      - .offset:         48
        .size:           8
        .value_kind:     by_value
      - .address_space:  global
        .offset:         56
        .size:           8
        .value_kind:     global_buffer
      - .offset:         64
        .size:           8
        .value_kind:     by_value
    .group_segment_fixed_size: 0
    .kernarg_segment_align: 8
    .kernarg_segment_size: 72
    .language:       OpenCL C
    .language_version:
      - 2
      - 0
    .max_flat_workgroup_size: 256
    .name:           _ZN9rocsolver6v33100L18geqr2_kernel_smallILi256EfifPKPfEEvT1_S5_T3_lS5_lPT2_lPT0_l
    .private_segment_fixed_size: 0
    .sgpr_count:     54
    .sgpr_spill_count: 0
    .symbol:         _ZN9rocsolver6v33100L18geqr2_kernel_smallILi256EfifPKPfEEvT1_S5_T3_lS5_lPT2_lPT0_l.kd
    .uniform_work_group_size: 1
    .uses_dynamic_stack: false
    .vgpr_count:     25
    .vgpr_spill_count: 0
    .wavefront_size: 64
  - .agpr_count:     0
    .args:
      - .address_space:  global
        .offset:         0
        .size:           8
        .value_kind:     global_buffer
      - .offset:         8
        .size:           8
        .value_kind:     by_value
      - .offset:         16
        .size:           4
        .value_kind:     by_value
      - .offset:         20
        .size:           4
        .value_kind:     by_value
      - .offset:         24
        .size:           4
        .value_kind:     hidden_block_count_x
      - .offset:         28
        .size:           4
        .value_kind:     hidden_block_count_y
      - .offset:         32
        .size:           4
        .value_kind:     hidden_block_count_z
      - .offset:         36
        .size:           2
        .value_kind:     hidden_group_size_x
      - .offset:         38
        .size:           2
        .value_kind:     hidden_group_size_y
      - .offset:         40
        .size:           2
        .value_kind:     hidden_group_size_z
      - .offset:         42
        .size:           2
        .value_kind:     hidden_remainder_x
      - .offset:         44
        .size:           2
        .value_kind:     hidden_remainder_y
      - .offset:         46
        .size:           2
        .value_kind:     hidden_remainder_z
      - .offset:         64
        .size:           8
        .value_kind:     hidden_global_offset_x
      - .offset:         72
        .size:           8
        .value_kind:     hidden_global_offset_y
      - .offset:         80
        .size:           8
        .value_kind:     hidden_global_offset_z
      - .offset:         88
        .size:           2
        .value_kind:     hidden_grid_dims
    .group_segment_fixed_size: 0
    .kernarg_segment_align: 8
    .kernarg_segment_size: 280
    .language:       OpenCL C
    .language_version:
      - 2
      - 0
    .max_flat_workgroup_size: 1024
    .name:           _ZN9rocsolver6v33100L16reset_batch_infoIfiiPfEEvT2_lT0_T1_
    .private_segment_fixed_size: 0
    .sgpr_count:     18
    .sgpr_spill_count: 0
    .symbol:         _ZN9rocsolver6v33100L16reset_batch_infoIfiiPfEEvT2_lT0_T1_.kd
    .uniform_work_group_size: 1
    .uses_dynamic_stack: false
    .vgpr_count:     3
    .vgpr_spill_count: 0
    .wavefront_size: 64
  - .agpr_count:     0
    .args:
      - .address_space:  global
        .offset:         0
        .size:           8
        .value_kind:     global_buffer
      - .offset:         8
        .size:           8
        .value_kind:     by_value
      - .offset:         16
        .size:           8
        .value_kind:     by_value
      - .address_space:  global
        .offset:         24
        .size:           8
        .value_kind:     global_buffer
      - .offset:         32
        .size:           8
        .value_kind:     by_value
      - .offset:         40
        .size:           4
        .value_kind:     by_value
      - .offset:         48
        .size:           8
        .value_kind:     by_value
      - .offset:         56
        .size:           4
        .value_kind:     by_value
      - .offset:         60
        .size:           1
        .value_kind:     by_value
      - .offset:         64
        .size:           4
        .value_kind:     hidden_block_count_x
      - .offset:         68
        .size:           4
        .value_kind:     hidden_block_count_y
      - .offset:         72
        .size:           4
        .value_kind:     hidden_block_count_z
      - .offset:         76
        .size:           2
        .value_kind:     hidden_group_size_x
      - .offset:         78
        .size:           2
        .value_kind:     hidden_group_size_y
      - .offset:         80
        .size:           2
        .value_kind:     hidden_group_size_z
      - .offset:         82
        .size:           2
        .value_kind:     hidden_remainder_x
      - .offset:         84
        .size:           2
        .value_kind:     hidden_remainder_y
      - .offset:         86
        .size:           2
        .value_kind:     hidden_remainder_z
      - .offset:         104
        .size:           8
        .value_kind:     hidden_global_offset_x
      - .offset:         112
        .size:           8
        .value_kind:     hidden_global_offset_y
      - .offset:         120
        .size:           8
        .value_kind:     hidden_global_offset_z
      - .offset:         128
        .size:           2
        .value_kind:     hidden_grid_dims
    .group_segment_fixed_size: 0
    .kernarg_segment_align: 8
    .kernarg_segment_size: 320
    .language:       OpenCL C
    .language_version:
      - 2
      - 0
    .max_flat_workgroup_size: 1024
    .name:           _ZN9rocsolver6v33100L8set_diagIfifPKPfTnNSt9enable_ifIXoont18rocblas_is_complexIT_E18rocblas_is_complexIT1_EEiE4typeELi0EEEvPS7_llT2_lT0_lSC_b
    .private_segment_fixed_size: 0
    .sgpr_count:     25
    .sgpr_spill_count: 0
    .symbol:         _ZN9rocsolver6v33100L8set_diagIfifPKPfTnNSt9enable_ifIXoont18rocblas_is_complexIT_E18rocblas_is_complexIT1_EEiE4typeELi0EEEvPS7_llT2_lT0_lSC_b.kd
    .uniform_work_group_size: 1
    .uses_dynamic_stack: false
    .vgpr_count:     5
    .vgpr_spill_count: 0
    .wavefront_size: 64
  - .agpr_count:     0
    .args:
      - .address_space:  global
        .offset:         0
        .size:           8
        .value_kind:     global_buffer
      - .offset:         8
        .size:           8
        .value_kind:     by_value
      - .address_space:  global
        .offset:         16
        .size:           8
        .value_kind:     global_buffer
      - .address_space:  global
        .offset:         24
        .size:           8
        .value_kind:     global_buffer
      - .offset:         32
        .size:           8
        .value_kind:     by_value
      - .offset:         40
        .size:           8
        .value_kind:     by_value
      - .address_space:  global
        .offset:         48
        .size:           8
        .value_kind:     global_buffer
      - .offset:         56
        .size:           8
        .value_kind:     by_value
      - .offset:         64
        .size:           8
        .value_kind:     by_value
    .group_segment_fixed_size: 0
    .kernarg_segment_align: 8
    .kernarg_segment_size: 72
    .language:       OpenCL C
    .language_version:
      - 2
      - 0
    .max_flat_workgroup_size: 1024
    .name:           _ZN9rocsolver6v33100L11set_taubetaIfifPKPfEEvPT_lS6_T2_llPT1_ll
    .private_segment_fixed_size: 0
    .sgpr_count:     28
    .sgpr_spill_count: 0
    .symbol:         _ZN9rocsolver6v33100L11set_taubetaIfifPKPfEEvPT_lS6_T2_llPT1_ll.kd
    .uniform_work_group_size: 1
    .uses_dynamic_stack: false
    .vgpr_count:     10
    .vgpr_spill_count: 0
    .wavefront_size: 64
  - .agpr_count:     0
    .args:
      - .offset:         0
        .size:           4
        .value_kind:     by_value
      - .offset:         4
        .size:           4
        .value_kind:     by_value
      - .address_space:  global
        .offset:         8
        .size:           8
        .value_kind:     global_buffer
      - .offset:         16
        .size:           8
        .value_kind:     by_value
      - .offset:         24
        .size:           4
        .value_kind:     by_value
      - .offset:         32
        .size:           8
        .value_kind:     by_value
    .group_segment_fixed_size: 0
    .kernarg_segment_align: 8
    .kernarg_segment_size: 40
    .language:       OpenCL C
    .language_version:
      - 2
      - 0
    .max_flat_workgroup_size: 1024
    .name:           _ZN9rocsolver6v33100L13conj_in_placeIfiPfTnNSt9enable_ifIXnt18rocblas_is_complexIT_EEiE4typeELi0EEEvT0_S7_T1_lS7_l
    .private_segment_fixed_size: 0
    .sgpr_count:     6
    .sgpr_spill_count: 0
    .symbol:         _ZN9rocsolver6v33100L13conj_in_placeIfiPfTnNSt9enable_ifIXnt18rocblas_is_complexIT_EEiE4typeELi0EEEvT0_S7_T1_lS7_l.kd
    .uniform_work_group_size: 1
    .uses_dynamic_stack: false
    .vgpr_count:     0
    .vgpr_spill_count: 0
    .wavefront_size: 64
  - .agpr_count:     0
    .args:
      - .offset:         0
        .size:           4
        .value_kind:     by_value
      - .offset:         4
        .size:           4
        .value_kind:     by_value
      - .address_space:  global
        .offset:         8
        .size:           8
        .value_kind:     global_buffer
      - .offset:         16
        .size:           8
        .value_kind:     by_value
      - .offset:         24
        .size:           4
        .value_kind:     by_value
      - .offset:         32
        .size:           8
        .value_kind:     by_value
      - .address_space:  global
        .offset:         40
        .size:           8
        .value_kind:     global_buffer
      - .offset:         48
        .size:           8
        .value_kind:     by_value
      - .address_space:  global
        .offset:         56
        .size:           8
        .value_kind:     global_buffer
      - .offset:         64
        .size:           8
        .value_kind:     by_value
      - .offset:         72
        .size:           4
        .value_kind:     by_value
      - .offset:         80
        .size:           8
        .value_kind:     by_value
    .group_segment_fixed_size: 0
    .kernarg_segment_align: 8
    .kernarg_segment_size: 88
    .language:       OpenCL C
    .language_version:
      - 2
      - 0
    .max_flat_workgroup_size: 1024
    .name:           _ZN9rocsolver6v33100L16larf_left_kernelILi1024EfiPKPfEEvT1_S5_T2_lS5_lPKT0_lS6_lS5_l
    .private_segment_fixed_size: 0
    .sgpr_count:     34
    .sgpr_spill_count: 0
    .symbol:         _ZN9rocsolver6v33100L16larf_left_kernelILi1024EfiPKPfEEvT1_S5_T2_lS5_lPKT0_lS6_lS5_l.kd
    .uniform_work_group_size: 1
    .uses_dynamic_stack: false
    .vgpr_count:     14
    .vgpr_spill_count: 0
    .wavefront_size: 64
  - .agpr_count:     0
    .args:
      - .offset:         0
        .size:           4
        .value_kind:     by_value
      - .offset:         4
        .size:           4
        .value_kind:     by_value
      - .address_space:  global
        .offset:         8
        .size:           8
        .value_kind:     global_buffer
      - .offset:         16
        .size:           8
        .value_kind:     by_value
      - .offset:         24
        .size:           4
        .value_kind:     by_value
      - .offset:         32
        .size:           8
        .value_kind:     by_value
      - .address_space:  global
        .offset:         40
        .size:           8
        .value_kind:     global_buffer
      - .offset:         48
        .size:           8
        .value_kind:     by_value
      - .address_space:  global
        .offset:         56
        .size:           8
        .value_kind:     global_buffer
      - .offset:         64
        .size:           8
        .value_kind:     by_value
      - .offset:         72
        .size:           4
        .value_kind:     by_value
      - .offset:         80
        .size:           8
        .value_kind:     by_value
    .group_segment_fixed_size: 0
    .kernarg_segment_align: 8
    .kernarg_segment_size: 88
    .language:       OpenCL C
    .language_version:
      - 2
      - 0
    .max_flat_workgroup_size: 1024
    .name:           _ZN9rocsolver6v33100L17larf_right_kernelILi1024EfiPKPfEEvT1_S5_T2_lS5_lPKT0_lS6_lS5_l
    .private_segment_fixed_size: 0
    .sgpr_count:     34
    .sgpr_spill_count: 0
    .symbol:         _ZN9rocsolver6v33100L17larf_right_kernelILi1024EfiPKPfEEvT1_S5_T2_lS5_lPKT0_lS6_lS5_l.kd
    .uniform_work_group_size: 1
    .uses_dynamic_stack: false
    .vgpr_count:     15
    .vgpr_spill_count: 0
    .wavefront_size: 64
  - .agpr_count:     0
    .args:
      - .address_space:  global
        .offset:         0
        .size:           8
        .value_kind:     global_buffer
      - .address_space:  global
        .offset:         8
        .size:           8
        .value_kind:     global_buffer
      - .offset:         16
        .size:           8
        .value_kind:     by_value
      - .offset:         24
        .size:           4
        .value_kind:     by_value
      - .offset:         32
        .size:           4
        .value_kind:     hidden_block_count_x
      - .offset:         36
        .size:           4
        .value_kind:     hidden_block_count_y
      - .offset:         40
        .size:           4
        .value_kind:     hidden_block_count_z
      - .offset:         44
        .size:           2
        .value_kind:     hidden_group_size_x
      - .offset:         46
        .size:           2
        .value_kind:     hidden_group_size_y
      - .offset:         48
        .size:           2
        .value_kind:     hidden_group_size_z
      - .offset:         50
        .size:           2
        .value_kind:     hidden_remainder_x
      - .offset:         52
        .size:           2
        .value_kind:     hidden_remainder_y
      - .offset:         54
        .size:           2
        .value_kind:     hidden_remainder_z
      - .offset:         72
        .size:           8
        .value_kind:     hidden_global_offset_x
      - .offset:         80
        .size:           8
        .value_kind:     hidden_global_offset_y
      - .offset:         88
        .size:           8
        .value_kind:     hidden_global_offset_z
      - .offset:         96
        .size:           2
        .value_kind:     hidden_grid_dims
    .group_segment_fixed_size: 0
    .kernarg_segment_align: 8
    .kernarg_segment_size: 288
    .language:       OpenCL C
    .language_version:
      - 2
      - 0
    .max_flat_workgroup_size: 1024
    .name:           _ZN9rocsolver6v33100L9get_arrayIfiEEvPPT_S3_lT0_
    .private_segment_fixed_size: 0
    .sgpr_count:     14
    .sgpr_spill_count: 0
    .symbol:         _ZN9rocsolver6v33100L9get_arrayIfiEEvPPT_S3_lT0_.kd
    .uniform_work_group_size: 1
    .uses_dynamic_stack: false
    .vgpr_count:     10
    .vgpr_spill_count: 0
    .wavefront_size: 64
  - .agpr_count:     0
    .args:
      - .address_space:  global
        .offset:         0
        .size:           8
        .value_kind:     global_buffer
      - .offset:         8
        .size:           8
        .value_kind:     by_value
      - .offset:         16
        .size:           8
        .value_kind:     by_value
      - .address_space:  global
        .offset:         24
        .size:           8
        .value_kind:     global_buffer
      - .offset:         32
        .size:           8
        .value_kind:     by_value
      - .offset:         40
        .size:           4
        .value_kind:     by_value
      - .offset:         48
        .size:           8
        .value_kind:     by_value
      - .offset:         56
        .size:           4
        .value_kind:     by_value
      - .offset:         64
        .size:           4
        .value_kind:     hidden_block_count_x
      - .offset:         68
        .size:           4
        .value_kind:     hidden_block_count_y
      - .offset:         72
        .size:           4
        .value_kind:     hidden_block_count_z
      - .offset:         76
        .size:           2
        .value_kind:     hidden_group_size_x
      - .offset:         78
        .size:           2
        .value_kind:     hidden_group_size_y
      - .offset:         80
        .size:           2
        .value_kind:     hidden_group_size_z
      - .offset:         82
        .size:           2
        .value_kind:     hidden_remainder_x
      - .offset:         84
        .size:           2
        .value_kind:     hidden_remainder_y
      - .offset:         86
        .size:           2
        .value_kind:     hidden_remainder_z
      - .offset:         104
        .size:           8
        .value_kind:     hidden_global_offset_x
      - .offset:         112
        .size:           8
        .value_kind:     hidden_global_offset_y
      - .offset:         120
        .size:           8
        .value_kind:     hidden_global_offset_z
      - .offset:         128
        .size:           2
        .value_kind:     hidden_grid_dims
    .group_segment_fixed_size: 0
    .kernarg_segment_align: 8
    .kernarg_segment_size: 320
    .language:       OpenCL C
    .language_version:
      - 2
      - 0
    .max_flat_workgroup_size: 1024
    .name:           _ZN9rocsolver6v33100L12restore_diagIfifPKPfEEvPT1_llT2_lT0_lS8_
    .private_segment_fixed_size: 0
    .sgpr_count:     23
    .sgpr_spill_count: 0
    .symbol:         _ZN9rocsolver6v33100L12restore_diagIfifPKPfEEvPT1_llT2_lT0_lS8_.kd
    .uniform_work_group_size: 1
    .uses_dynamic_stack: false
    .vgpr_count:     5
    .vgpr_spill_count: 0
    .wavefront_size: 64
  - .agpr_count:     0
    .args:
      - .address_space:  global
        .offset:         0
        .size:           8
        .value_kind:     global_buffer
      - .offset:         8
        .size:           4
        .value_kind:     by_value
      - .offset:         16
        .size:           8
        .value_kind:     by_value
    .group_segment_fixed_size: 0
    .kernarg_segment_align: 8
    .kernarg_segment_size: 24
    .language:       OpenCL C
    .language_version:
      - 2
      - 0
    .max_flat_workgroup_size: 32
    .name:           _ZN9rocsolver6v33100L6iota_nIdEEvPT_jS2_
    .private_segment_fixed_size: 0
    .sgpr_count:     12
    .sgpr_spill_count: 0
    .symbol:         _ZN9rocsolver6v33100L6iota_nIdEEvPT_jS2_.kd
    .uniform_work_group_size: 1
    .uses_dynamic_stack: false
    .vgpr_count:     3
    .vgpr_spill_count: 0
    .wavefront_size: 64
  - .agpr_count:     0
    .args:
      - .offset:         0
        .size:           4
        .value_kind:     by_value
      - .offset:         4
        .size:           4
        .value_kind:     by_value
      - .address_space:  global
        .offset:         8
        .size:           8
        .value_kind:     global_buffer
      - .offset:         16
        .size:           8
        .value_kind:     by_value
      - .offset:         24
        .size:           4
        .value_kind:     by_value
      - .offset:         32
        .size:           8
        .value_kind:     by_value
      - .address_space:  global
        .offset:         40
        .size:           8
        .value_kind:     global_buffer
      - .offset:         48
        .size:           8
        .value_kind:     by_value
      - .address_space:  global
        .offset:         56
        .size:           8
        .value_kind:     global_buffer
      - .offset:         64
        .size:           8
        .value_kind:     by_value
    .group_segment_fixed_size: 0
    .kernarg_segment_align: 8
    .kernarg_segment_size: 72
    .language:       OpenCL C
    .language_version:
      - 2
      - 0
    .max_flat_workgroup_size: 256
    .name:           _ZN9rocsolver6v33100L18geqr2_kernel_smallILi256EdidPKPdEEvT1_S5_T3_lS5_lPT2_lPT0_l
    .private_segment_fixed_size: 0
    .sgpr_count:     54
    .sgpr_spill_count: 0
    .symbol:         _ZN9rocsolver6v33100L18geqr2_kernel_smallILi256EdidPKPdEEvT1_S5_T3_lS5_lPT2_lPT0_l.kd
    .uniform_work_group_size: 1
    .uses_dynamic_stack: false
    .vgpr_count:     38
    .vgpr_spill_count: 0
    .wavefront_size: 64
  - .agpr_count:     0
    .args:
      - .address_space:  global
        .offset:         0
        .size:           8
        .value_kind:     global_buffer
      - .offset:         8
        .size:           8
        .value_kind:     by_value
      - .offset:         16
        .size:           4
        .value_kind:     by_value
      - .offset:         20
        .size:           4
        .value_kind:     by_value
      - .offset:         24
        .size:           4
        .value_kind:     hidden_block_count_x
      - .offset:         28
        .size:           4
        .value_kind:     hidden_block_count_y
      - .offset:         32
        .size:           4
        .value_kind:     hidden_block_count_z
      - .offset:         36
        .size:           2
        .value_kind:     hidden_group_size_x
      - .offset:         38
        .size:           2
        .value_kind:     hidden_group_size_y
      - .offset:         40
        .size:           2
        .value_kind:     hidden_group_size_z
      - .offset:         42
        .size:           2
        .value_kind:     hidden_remainder_x
      - .offset:         44
        .size:           2
        .value_kind:     hidden_remainder_y
      - .offset:         46
        .size:           2
        .value_kind:     hidden_remainder_z
      - .offset:         64
        .size:           8
        .value_kind:     hidden_global_offset_x
      - .offset:         72
        .size:           8
        .value_kind:     hidden_global_offset_y
      - .offset:         80
        .size:           8
        .value_kind:     hidden_global_offset_z
      - .offset:         88
        .size:           2
        .value_kind:     hidden_grid_dims
    .group_segment_fixed_size: 0
    .kernarg_segment_align: 8
    .kernarg_segment_size: 280
    .language:       OpenCL C
    .language_version:
      - 2
      - 0
    .max_flat_workgroup_size: 1024
    .name:           _ZN9rocsolver6v33100L16reset_batch_infoIdiiPdEEvT2_lT0_T1_
    .private_segment_fixed_size: 0
    .sgpr_count:     18
    .sgpr_spill_count: 0
    .symbol:         _ZN9rocsolver6v33100L16reset_batch_infoIdiiPdEEvT2_lT0_T1_.kd
    .uniform_work_group_size: 1
    .uses_dynamic_stack: false
    .vgpr_count:     4
    .vgpr_spill_count: 0
    .wavefront_size: 64
  - .agpr_count:     0
    .args:
      - .address_space:  global
        .offset:         0
        .size:           8
        .value_kind:     global_buffer
      - .offset:         8
        .size:           8
        .value_kind:     by_value
      - .offset:         16
        .size:           8
        .value_kind:     by_value
      - .address_space:  global
        .offset:         24
        .size:           8
        .value_kind:     global_buffer
      - .offset:         32
        .size:           8
        .value_kind:     by_value
      - .offset:         40
        .size:           4
        .value_kind:     by_value
      - .offset:         48
        .size:           8
        .value_kind:     by_value
      - .offset:         56
        .size:           4
        .value_kind:     by_value
      - .offset:         60
        .size:           1
        .value_kind:     by_value
      - .offset:         64
        .size:           4
        .value_kind:     hidden_block_count_x
      - .offset:         68
        .size:           4
        .value_kind:     hidden_block_count_y
      - .offset:         72
        .size:           4
        .value_kind:     hidden_block_count_z
      - .offset:         76
        .size:           2
        .value_kind:     hidden_group_size_x
      - .offset:         78
        .size:           2
        .value_kind:     hidden_group_size_y
      - .offset:         80
        .size:           2
        .value_kind:     hidden_group_size_z
      - .offset:         82
        .size:           2
        .value_kind:     hidden_remainder_x
      - .offset:         84
        .size:           2
        .value_kind:     hidden_remainder_y
      - .offset:         86
        .size:           2
        .value_kind:     hidden_remainder_z
      - .offset:         104
        .size:           8
        .value_kind:     hidden_global_offset_x
      - .offset:         112
        .size:           8
        .value_kind:     hidden_global_offset_y
      - .offset:         120
        .size:           8
        .value_kind:     hidden_global_offset_z
      - .offset:         128
        .size:           2
        .value_kind:     hidden_grid_dims
    .group_segment_fixed_size: 0
    .kernarg_segment_align: 8
    .kernarg_segment_size: 320
    .language:       OpenCL C
    .language_version:
      - 2
      - 0
    .max_flat_workgroup_size: 1024
    .name:           _ZN9rocsolver6v33100L8set_diagIdidPKPdTnNSt9enable_ifIXoont18rocblas_is_complexIT_E18rocblas_is_complexIT1_EEiE4typeELi0EEEvPS7_llT2_lT0_lSC_b
    .private_segment_fixed_size: 0
    .sgpr_count:     23
    .sgpr_spill_count: 0
    .symbol:         _ZN9rocsolver6v33100L8set_diagIdidPKPdTnNSt9enable_ifIXoont18rocblas_is_complexIT_E18rocblas_is_complexIT1_EEiE4typeELi0EEEvPS7_llT2_lT0_lSC_b.kd
    .uniform_work_group_size: 1
    .uses_dynamic_stack: false
    .vgpr_count:     7
    .vgpr_spill_count: 0
    .wavefront_size: 64
  - .agpr_count:     0
    .args:
      - .address_space:  global
        .offset:         0
        .size:           8
        .value_kind:     global_buffer
      - .offset:         8
        .size:           8
        .value_kind:     by_value
      - .address_space:  global
        .offset:         16
        .size:           8
        .value_kind:     global_buffer
      - .address_space:  global
        .offset:         24
        .size:           8
        .value_kind:     global_buffer
      - .offset:         32
        .size:           8
        .value_kind:     by_value
      - .offset:         40
        .size:           8
        .value_kind:     by_value
      - .address_space:  global
        .offset:         48
        .size:           8
        .value_kind:     global_buffer
      - .offset:         56
        .size:           8
        .value_kind:     by_value
      - .offset:         64
        .size:           8
        .value_kind:     by_value
    .group_segment_fixed_size: 0
    .kernarg_segment_align: 8
    .kernarg_segment_size: 72
    .language:       OpenCL C
    .language_version:
      - 2
      - 0
    .max_flat_workgroup_size: 1024
    .name:           _ZN9rocsolver6v33100L11set_taubetaIdidPKPdEEvPT_lS6_T2_llPT1_ll
    .private_segment_fixed_size: 0
    .sgpr_count:     30
    .sgpr_spill_count: 0
    .symbol:         _ZN9rocsolver6v33100L11set_taubetaIdidPKPdEEvPT_lS6_T2_llPT1_ll.kd
    .uniform_work_group_size: 1
    .uses_dynamic_stack: false
    .vgpr_count:     15
    .vgpr_spill_count: 0
    .wavefront_size: 64
  - .agpr_count:     0
    .args:
      - .offset:         0
        .size:           4
        .value_kind:     by_value
      - .offset:         4
        .size:           4
        .value_kind:     by_value
      - .address_space:  global
        .offset:         8
        .size:           8
        .value_kind:     global_buffer
      - .offset:         16
        .size:           8
        .value_kind:     by_value
      - .offset:         24
        .size:           4
        .value_kind:     by_value
      - .offset:         32
        .size:           8
        .value_kind:     by_value
    .group_segment_fixed_size: 0
    .kernarg_segment_align: 8
    .kernarg_segment_size: 40
    .language:       OpenCL C
    .language_version:
      - 2
      - 0
    .max_flat_workgroup_size: 1024
    .name:           _ZN9rocsolver6v33100L13conj_in_placeIdiPdTnNSt9enable_ifIXnt18rocblas_is_complexIT_EEiE4typeELi0EEEvT0_S7_T1_lS7_l
    .private_segment_fixed_size: 0
    .sgpr_count:     6
    .sgpr_spill_count: 0
    .symbol:         _ZN9rocsolver6v33100L13conj_in_placeIdiPdTnNSt9enable_ifIXnt18rocblas_is_complexIT_EEiE4typeELi0EEEvT0_S7_T1_lS7_l.kd
    .uniform_work_group_size: 1
    .uses_dynamic_stack: false
    .vgpr_count:     0
    .vgpr_spill_count: 0
    .wavefront_size: 64
  - .agpr_count:     0
    .args:
      - .offset:         0
        .size:           4
        .value_kind:     by_value
      - .offset:         4
        .size:           4
        .value_kind:     by_value
      - .address_space:  global
        .offset:         8
        .size:           8
        .value_kind:     global_buffer
      - .offset:         16
        .size:           8
        .value_kind:     by_value
      - .offset:         24
        .size:           4
        .value_kind:     by_value
      - .offset:         32
        .size:           8
        .value_kind:     by_value
      - .address_space:  global
        .offset:         40
        .size:           8
        .value_kind:     global_buffer
      - .offset:         48
        .size:           8
        .value_kind:     by_value
      - .address_space:  global
        .offset:         56
        .size:           8
        .value_kind:     global_buffer
      - .offset:         64
        .size:           8
        .value_kind:     by_value
      - .offset:         72
        .size:           4
        .value_kind:     by_value
      - .offset:         80
        .size:           8
        .value_kind:     by_value
    .group_segment_fixed_size: 0
    .kernarg_segment_align: 8
    .kernarg_segment_size: 88
    .language:       OpenCL C
    .language_version:
      - 2
      - 0
    .max_flat_workgroup_size: 1024
    .name:           _ZN9rocsolver6v33100L16larf_left_kernelILi1024EdiPKPdEEvT1_S5_T2_lS5_lPKT0_lS6_lS5_l
    .private_segment_fixed_size: 0
    .sgpr_count:     34
    .sgpr_spill_count: 0
    .symbol:         _ZN9rocsolver6v33100L16larf_left_kernelILi1024EdiPKPdEEvT1_S5_T2_lS5_lPKT0_lS6_lS5_l.kd
    .uniform_work_group_size: 1
    .uses_dynamic_stack: false
    .vgpr_count:     24
    .vgpr_spill_count: 0
    .wavefront_size: 64
  - .agpr_count:     0
    .args:
      - .offset:         0
        .size:           4
        .value_kind:     by_value
      - .offset:         4
        .size:           4
        .value_kind:     by_value
      - .address_space:  global
        .offset:         8
        .size:           8
        .value_kind:     global_buffer
      - .offset:         16
        .size:           8
        .value_kind:     by_value
      - .offset:         24
        .size:           4
        .value_kind:     by_value
      - .offset:         32
        .size:           8
        .value_kind:     by_value
      - .address_space:  global
        .offset:         40
        .size:           8
        .value_kind:     global_buffer
      - .offset:         48
        .size:           8
        .value_kind:     by_value
      - .address_space:  global
        .offset:         56
        .size:           8
        .value_kind:     global_buffer
      - .offset:         64
        .size:           8
        .value_kind:     by_value
      - .offset:         72
        .size:           4
        .value_kind:     by_value
      - .offset:         80
        .size:           8
        .value_kind:     by_value
    .group_segment_fixed_size: 0
    .kernarg_segment_align: 8
    .kernarg_segment_size: 88
    .language:       OpenCL C
    .language_version:
      - 2
      - 0
    .max_flat_workgroup_size: 1024
    .name:           _ZN9rocsolver6v33100L17larf_right_kernelILi1024EdiPKPdEEvT1_S5_T2_lS5_lPKT0_lS6_lS5_l
    .private_segment_fixed_size: 0
    .sgpr_count:     34
    .sgpr_spill_count: 0
    .symbol:         _ZN9rocsolver6v33100L17larf_right_kernelILi1024EdiPKPdEEvT1_S5_T2_lS5_lPKT0_lS6_lS5_l.kd
    .uniform_work_group_size: 1
    .uses_dynamic_stack: false
    .vgpr_count:     25
    .vgpr_spill_count: 0
    .wavefront_size: 64
  - .agpr_count:     0
    .args:
      - .address_space:  global
        .offset:         0
        .size:           8
        .value_kind:     global_buffer
      - .address_space:  global
        .offset:         8
        .size:           8
        .value_kind:     global_buffer
      - .offset:         16
        .size:           8
        .value_kind:     by_value
      - .offset:         24
        .size:           4
        .value_kind:     by_value
      - .offset:         32
        .size:           4
        .value_kind:     hidden_block_count_x
      - .offset:         36
        .size:           4
        .value_kind:     hidden_block_count_y
      - .offset:         40
        .size:           4
        .value_kind:     hidden_block_count_z
      - .offset:         44
        .size:           2
        .value_kind:     hidden_group_size_x
      - .offset:         46
        .size:           2
        .value_kind:     hidden_group_size_y
      - .offset:         48
        .size:           2
        .value_kind:     hidden_group_size_z
      - .offset:         50
        .size:           2
        .value_kind:     hidden_remainder_x
      - .offset:         52
        .size:           2
        .value_kind:     hidden_remainder_y
      - .offset:         54
        .size:           2
        .value_kind:     hidden_remainder_z
      - .offset:         72
        .size:           8
        .value_kind:     hidden_global_offset_x
      - .offset:         80
        .size:           8
        .value_kind:     hidden_global_offset_y
      - .offset:         88
        .size:           8
        .value_kind:     hidden_global_offset_z
      - .offset:         96
        .size:           2
        .value_kind:     hidden_grid_dims
    .group_segment_fixed_size: 0
    .kernarg_segment_align: 8
    .kernarg_segment_size: 288
    .language:       OpenCL C
    .language_version:
      - 2
      - 0
    .max_flat_workgroup_size: 1024
    .name:           _ZN9rocsolver6v33100L9get_arrayIdiEEvPPT_S3_lT0_
    .private_segment_fixed_size: 0
    .sgpr_count:     14
    .sgpr_spill_count: 0
    .symbol:         _ZN9rocsolver6v33100L9get_arrayIdiEEvPPT_S3_lT0_.kd
    .uniform_work_group_size: 1
    .uses_dynamic_stack: false
    .vgpr_count:     10
    .vgpr_spill_count: 0
    .wavefront_size: 64
  - .agpr_count:     0
    .args:
      - .address_space:  global
        .offset:         0
        .size:           8
        .value_kind:     global_buffer
      - .offset:         8
        .size:           8
        .value_kind:     by_value
      - .offset:         16
        .size:           8
        .value_kind:     by_value
      - .address_space:  global
        .offset:         24
        .size:           8
        .value_kind:     global_buffer
      - .offset:         32
        .size:           8
        .value_kind:     by_value
      - .offset:         40
        .size:           4
        .value_kind:     by_value
      - .offset:         48
        .size:           8
        .value_kind:     by_value
      - .offset:         56
        .size:           4
        .value_kind:     by_value
      - .offset:         64
        .size:           4
        .value_kind:     hidden_block_count_x
      - .offset:         68
        .size:           4
        .value_kind:     hidden_block_count_y
      - .offset:         72
        .size:           4
        .value_kind:     hidden_block_count_z
      - .offset:         76
        .size:           2
        .value_kind:     hidden_group_size_x
      - .offset:         78
        .size:           2
        .value_kind:     hidden_group_size_y
      - .offset:         80
        .size:           2
        .value_kind:     hidden_group_size_z
      - .offset:         82
        .size:           2
        .value_kind:     hidden_remainder_x
      - .offset:         84
        .size:           2
        .value_kind:     hidden_remainder_y
      - .offset:         86
        .size:           2
        .value_kind:     hidden_remainder_z
      - .offset:         104
        .size:           8
        .value_kind:     hidden_global_offset_x
      - .offset:         112
        .size:           8
        .value_kind:     hidden_global_offset_y
      - .offset:         120
        .size:           8
        .value_kind:     hidden_global_offset_z
      - .offset:         128
        .size:           2
        .value_kind:     hidden_grid_dims
    .group_segment_fixed_size: 0
    .kernarg_segment_align: 8
    .kernarg_segment_size: 320
    .language:       OpenCL C
    .language_version:
      - 2
      - 0
    .max_flat_workgroup_size: 1024
    .name:           _ZN9rocsolver6v33100L12restore_diagIdidPKPdEEvPT1_llT2_lT0_lS8_
    .private_segment_fixed_size: 0
    .sgpr_count:     23
    .sgpr_spill_count: 0
    .symbol:         _ZN9rocsolver6v33100L12restore_diagIdidPKPdEEvPT1_llT2_lT0_lS8_.kd
    .uniform_work_group_size: 1
    .uses_dynamic_stack: false
    .vgpr_count:     4
    .vgpr_spill_count: 0
    .wavefront_size: 64
  - .agpr_count:     0
    .args:
      - .address_space:  global
        .offset:         0
        .size:           8
        .value_kind:     global_buffer
      - .offset:         8
        .size:           4
        .value_kind:     by_value
      - .offset:         12
        .size:           8
        .value_kind:     by_value
    .group_segment_fixed_size: 0
    .kernarg_segment_align: 8
    .kernarg_segment_size: 20
    .language:       OpenCL C
    .language_version:
      - 2
      - 0
    .max_flat_workgroup_size: 32
    .name:           _ZN9rocsolver6v33100L6iota_nI19rocblas_complex_numIfEEEvPT_jS4_
    .private_segment_fixed_size: 0
    .sgpr_count:     12
    .sgpr_spill_count: 0
    .symbol:         _ZN9rocsolver6v33100L6iota_nI19rocblas_complex_numIfEEEvPT_jS4_.kd
    .uniform_work_group_size: 1
    .uses_dynamic_stack: false
    .vgpr_count:     5
    .vgpr_spill_count: 0
    .wavefront_size: 64
  - .agpr_count:     0
    .args:
      - .offset:         0
        .size:           4
        .value_kind:     by_value
      - .offset:         4
        .size:           4
        .value_kind:     by_value
      - .address_space:  global
        .offset:         8
        .size:           8
        .value_kind:     global_buffer
      - .offset:         16
        .size:           8
        .value_kind:     by_value
      - .offset:         24
        .size:           4
        .value_kind:     by_value
      - .offset:         32
        .size:           8
        .value_kind:     by_value
      - .address_space:  global
        .offset:         40
        .size:           8
        .value_kind:     global_buffer
      - .offset:         48
        .size:           8
        .value_kind:     by_value
      - .address_space:  global
        .offset:         56
        .size:           8
        .value_kind:     global_buffer
      - .offset:         64
        .size:           8
        .value_kind:     by_value
    .group_segment_fixed_size: 0
    .kernarg_segment_align: 8
    .kernarg_segment_size: 72
    .language:       OpenCL C
    .language_version:
      - 2
      - 0
    .max_flat_workgroup_size: 256
    .name:           _ZN9rocsolver6v33100L18geqr2_kernel_smallILi256E19rocblas_complex_numIfEifPKPS3_EEvT1_S7_T3_lS7_lPT2_lPT0_l
    .private_segment_fixed_size: 0
    .sgpr_count:     51
    .sgpr_spill_count: 0
    .symbol:         _ZN9rocsolver6v33100L18geqr2_kernel_smallILi256E19rocblas_complex_numIfEifPKPS3_EEvT1_S7_T3_lS7_lPT2_lPT0_l.kd
    .uniform_work_group_size: 1
    .uses_dynamic_stack: false
    .vgpr_count:     32
    .vgpr_spill_count: 0
    .wavefront_size: 64
  - .agpr_count:     0
    .args:
      - .address_space:  global
        .offset:         0
        .size:           8
        .value_kind:     global_buffer
      - .offset:         8
        .size:           8
        .value_kind:     by_value
      - .offset:         16
        .size:           4
        .value_kind:     by_value
      - .offset:         20
        .size:           4
        .value_kind:     by_value
      - .offset:         24
        .size:           4
        .value_kind:     hidden_block_count_x
      - .offset:         28
        .size:           4
        .value_kind:     hidden_block_count_y
      - .offset:         32
        .size:           4
        .value_kind:     hidden_block_count_z
      - .offset:         36
        .size:           2
        .value_kind:     hidden_group_size_x
      - .offset:         38
        .size:           2
        .value_kind:     hidden_group_size_y
      - .offset:         40
        .size:           2
        .value_kind:     hidden_group_size_z
      - .offset:         42
        .size:           2
        .value_kind:     hidden_remainder_x
      - .offset:         44
        .size:           2
        .value_kind:     hidden_remainder_y
      - .offset:         46
        .size:           2
        .value_kind:     hidden_remainder_z
      - .offset:         64
        .size:           8
        .value_kind:     hidden_global_offset_x
      - .offset:         72
        .size:           8
        .value_kind:     hidden_global_offset_y
      - .offset:         80
        .size:           8
        .value_kind:     hidden_global_offset_z
      - .offset:         88
        .size:           2
        .value_kind:     hidden_grid_dims
    .group_segment_fixed_size: 0
    .kernarg_segment_align: 8
    .kernarg_segment_size: 280
    .language:       OpenCL C
    .language_version:
      - 2
      - 0
    .max_flat_workgroup_size: 1024
    .name:           _ZN9rocsolver6v33100L16reset_batch_infoI19rocblas_complex_numIfEiiPS3_EEvT2_lT0_T1_
    .private_segment_fixed_size: 0
    .sgpr_count:     18
    .sgpr_spill_count: 0
    .symbol:         _ZN9rocsolver6v33100L16reset_batch_infoI19rocblas_complex_numIfEiiPS3_EEvT2_lT0_T1_.kd
    .uniform_work_group_size: 1
    .uses_dynamic_stack: false
    .vgpr_count:     4
    .vgpr_spill_count: 0
    .wavefront_size: 64
  - .agpr_count:     0
    .args:
      - .address_space:  global
        .offset:         0
        .size:           8
        .value_kind:     global_buffer
      - .offset:         8
        .size:           8
        .value_kind:     by_value
      - .offset:         16
        .size:           8
        .value_kind:     by_value
      - .address_space:  global
        .offset:         24
        .size:           8
        .value_kind:     global_buffer
      - .offset:         32
        .size:           8
        .value_kind:     by_value
      - .offset:         40
        .size:           4
        .value_kind:     by_value
      - .offset:         48
        .size:           8
        .value_kind:     by_value
      - .offset:         56
        .size:           4
        .value_kind:     by_value
      - .offset:         60
        .size:           1
        .value_kind:     by_value
      - .offset:         64
        .size:           4
        .value_kind:     hidden_block_count_x
      - .offset:         68
        .size:           4
        .value_kind:     hidden_block_count_y
      - .offset:         72
        .size:           4
        .value_kind:     hidden_block_count_z
      - .offset:         76
        .size:           2
        .value_kind:     hidden_group_size_x
      - .offset:         78
        .size:           2
        .value_kind:     hidden_group_size_y
      - .offset:         80
        .size:           2
        .value_kind:     hidden_group_size_z
      - .offset:         82
        .size:           2
        .value_kind:     hidden_remainder_x
      - .offset:         84
        .size:           2
        .value_kind:     hidden_remainder_y
      - .offset:         86
        .size:           2
        .value_kind:     hidden_remainder_z
      - .offset:         104
        .size:           8
        .value_kind:     hidden_global_offset_x
      - .offset:         112
        .size:           8
        .value_kind:     hidden_global_offset_y
      - .offset:         120
        .size:           8
        .value_kind:     hidden_global_offset_z
      - .offset:         128
        .size:           2
        .value_kind:     hidden_grid_dims
    .group_segment_fixed_size: 0
    .kernarg_segment_align: 8
    .kernarg_segment_size: 320
    .language:       OpenCL C
    .language_version:
      - 2
      - 0
    .max_flat_workgroup_size: 1024
    .name:           _ZN9rocsolver6v33100L8set_diagI19rocblas_complex_numIfEifPKPS3_TnNSt9enable_ifIXaa18rocblas_is_complexIT_Ent18rocblas_is_complexIT1_EEiE4typeELi0EEEvPS9_llT2_lT0_lSE_b
    .private_segment_fixed_size: 0
    .sgpr_count:     25
    .sgpr_spill_count: 0
    .symbol:         _ZN9rocsolver6v33100L8set_diagI19rocblas_complex_numIfEifPKPS3_TnNSt9enable_ifIXaa18rocblas_is_complexIT_Ent18rocblas_is_complexIT1_EEiE4typeELi0EEEvPS9_llT2_lT0_lSE_b.kd
    .uniform_work_group_size: 1
    .uses_dynamic_stack: false
    .vgpr_count:     6
    .vgpr_spill_count: 0
    .wavefront_size: 64
  - .agpr_count:     0
    .args:
      - .address_space:  global
        .offset:         0
        .size:           8
        .value_kind:     global_buffer
      - .offset:         8
        .size:           8
        .value_kind:     by_value
      - .address_space:  global
        .offset:         16
        .size:           8
        .value_kind:     global_buffer
      - .address_space:  global
        .offset:         24
        .size:           8
        .value_kind:     global_buffer
      - .offset:         32
        .size:           8
        .value_kind:     by_value
      - .offset:         40
        .size:           8
        .value_kind:     by_value
      - .address_space:  global
        .offset:         48
        .size:           8
        .value_kind:     global_buffer
      - .offset:         56
        .size:           8
        .value_kind:     by_value
      - .offset:         64
        .size:           8
        .value_kind:     by_value
    .group_segment_fixed_size: 0
    .kernarg_segment_align: 8
    .kernarg_segment_size: 72
    .language:       OpenCL C
    .language_version:
      - 2
      - 0
    .max_flat_workgroup_size: 1024
    .name:           _ZN9rocsolver6v33100L11set_taubetaI19rocblas_complex_numIfEifPKPS3_EEvPT_lS8_T2_llPT1_ll
    .private_segment_fixed_size: 0
    .sgpr_count:     30
    .sgpr_spill_count: 0
    .symbol:         _ZN9rocsolver6v33100L11set_taubetaI19rocblas_complex_numIfEifPKPS3_EEvPT_lS8_T2_llPT1_ll.kd
    .uniform_work_group_size: 1
    .uses_dynamic_stack: false
    .vgpr_count:     25
    .vgpr_spill_count: 0
    .wavefront_size: 64
  - .agpr_count:     0
    .args:
      - .offset:         0
        .size:           4
        .value_kind:     by_value
      - .offset:         4
        .size:           4
        .value_kind:     by_value
      - .address_space:  global
        .offset:         8
        .size:           8
        .value_kind:     global_buffer
      - .offset:         16
        .size:           8
        .value_kind:     by_value
      - .offset:         24
        .size:           4
        .value_kind:     by_value
      - .offset:         32
        .size:           8
        .value_kind:     by_value
      - .offset:         40
        .size:           4
        .value_kind:     hidden_block_count_x
      - .offset:         44
        .size:           4
        .value_kind:     hidden_block_count_y
      - .offset:         48
        .size:           4
        .value_kind:     hidden_block_count_z
      - .offset:         52
        .size:           2
        .value_kind:     hidden_group_size_x
      - .offset:         54
        .size:           2
        .value_kind:     hidden_group_size_y
      - .offset:         56
        .size:           2
        .value_kind:     hidden_group_size_z
      - .offset:         58
        .size:           2
        .value_kind:     hidden_remainder_x
      - .offset:         60
        .size:           2
        .value_kind:     hidden_remainder_y
      - .offset:         62
        .size:           2
        .value_kind:     hidden_remainder_z
      - .offset:         80
        .size:           8
        .value_kind:     hidden_global_offset_x
      - .offset:         88
        .size:           8
        .value_kind:     hidden_global_offset_y
      - .offset:         96
        .size:           8
        .value_kind:     hidden_global_offset_z
      - .offset:         104
        .size:           2
        .value_kind:     hidden_grid_dims
    .group_segment_fixed_size: 0
    .kernarg_segment_align: 8
    .kernarg_segment_size: 296
    .language:       OpenCL C
    .language_version:
      - 2
      - 0
    .max_flat_workgroup_size: 1024
    .name:           _ZN9rocsolver6v33100L13conj_in_placeI19rocblas_complex_numIfEiPS3_TnNSt9enable_ifIX18rocblas_is_complexIT_EEiE4typeELi0EEEvT0_S9_T1_lS9_l
    .private_segment_fixed_size: 0
    .sgpr_count:     18
    .sgpr_spill_count: 0
    .symbol:         _ZN9rocsolver6v33100L13conj_in_placeI19rocblas_complex_numIfEiPS3_TnNSt9enable_ifIX18rocblas_is_complexIT_EEiE4typeELi0EEEvT0_S9_T1_lS9_l.kd
    .uniform_work_group_size: 1
    .uses_dynamic_stack: false
    .vgpr_count:     6
    .vgpr_spill_count: 0
    .wavefront_size: 64
  - .agpr_count:     0
    .args:
      - .offset:         0
        .size:           4
        .value_kind:     by_value
      - .offset:         4
        .size:           4
        .value_kind:     by_value
      - .address_space:  global
        .offset:         8
        .size:           8
        .value_kind:     global_buffer
      - .offset:         16
        .size:           8
        .value_kind:     by_value
      - .offset:         24
        .size:           4
        .value_kind:     by_value
      - .offset:         32
        .size:           8
        .value_kind:     by_value
      - .address_space:  global
        .offset:         40
        .size:           8
        .value_kind:     global_buffer
      - .offset:         48
        .size:           8
        .value_kind:     by_value
      - .address_space:  global
        .offset:         56
        .size:           8
        .value_kind:     global_buffer
      - .offset:         64
        .size:           8
        .value_kind:     by_value
      - .offset:         72
        .size:           4
        .value_kind:     by_value
      - .offset:         80
        .size:           8
        .value_kind:     by_value
    .group_segment_fixed_size: 0
    .kernarg_segment_align: 8
    .kernarg_segment_size: 88
    .language:       OpenCL C
    .language_version:
      - 2
      - 0
    .max_flat_workgroup_size: 1024
    .name:           _ZN9rocsolver6v33100L16larf_left_kernelILi1024E19rocblas_complex_numIfEiPKPS3_EEvT1_S7_T2_lS7_lPKT0_lS8_lS7_l
    .private_segment_fixed_size: 0
    .sgpr_count:     34
    .sgpr_spill_count: 0
    .symbol:         _ZN9rocsolver6v33100L16larf_left_kernelILi1024E19rocblas_complex_numIfEiPKPS3_EEvT1_S7_T2_lS7_lPKT0_lS8_lS7_l.kd
    .uniform_work_group_size: 1
    .uses_dynamic_stack: false
    .vgpr_count:     24
    .vgpr_spill_count: 0
    .wavefront_size: 64
  - .agpr_count:     0
    .args:
      - .offset:         0
        .size:           4
        .value_kind:     by_value
      - .offset:         4
        .size:           4
        .value_kind:     by_value
      - .address_space:  global
        .offset:         8
        .size:           8
        .value_kind:     global_buffer
      - .offset:         16
        .size:           8
        .value_kind:     by_value
      - .offset:         24
        .size:           4
        .value_kind:     by_value
      - .offset:         32
        .size:           8
        .value_kind:     by_value
      - .address_space:  global
        .offset:         40
        .size:           8
        .value_kind:     global_buffer
      - .offset:         48
        .size:           8
        .value_kind:     by_value
      - .address_space:  global
        .offset:         56
        .size:           8
        .value_kind:     global_buffer
      - .offset:         64
        .size:           8
        .value_kind:     by_value
      - .offset:         72
        .size:           4
        .value_kind:     by_value
      - .offset:         80
        .size:           8
        .value_kind:     by_value
    .group_segment_fixed_size: 0
    .kernarg_segment_align: 8
    .kernarg_segment_size: 88
    .language:       OpenCL C
    .language_version:
      - 2
      - 0
    .max_flat_workgroup_size: 1024
    .name:           _ZN9rocsolver6v33100L17larf_right_kernelILi1024E19rocblas_complex_numIfEiPKPS3_EEvT1_S7_T2_lS7_lPKT0_lS8_lS7_l
    .private_segment_fixed_size: 0
    .sgpr_count:     34
    .sgpr_spill_count: 0
    .symbol:         _ZN9rocsolver6v33100L17larf_right_kernelILi1024E19rocblas_complex_numIfEiPKPS3_EEvT1_S7_T2_lS7_lPKT0_lS8_lS7_l.kd
    .uniform_work_group_size: 1
    .uses_dynamic_stack: false
    .vgpr_count:     25
    .vgpr_spill_count: 0
    .wavefront_size: 64
  - .agpr_count:     0
    .args:
      - .address_space:  global
        .offset:         0
        .size:           8
        .value_kind:     global_buffer
      - .address_space:  global
        .offset:         8
        .size:           8
        .value_kind:     global_buffer
      - .offset:         16
        .size:           8
        .value_kind:     by_value
      - .offset:         24
        .size:           4
        .value_kind:     by_value
      - .offset:         32
        .size:           4
        .value_kind:     hidden_block_count_x
      - .offset:         36
        .size:           4
        .value_kind:     hidden_block_count_y
      - .offset:         40
        .size:           4
        .value_kind:     hidden_block_count_z
      - .offset:         44
        .size:           2
        .value_kind:     hidden_group_size_x
      - .offset:         46
        .size:           2
        .value_kind:     hidden_group_size_y
      - .offset:         48
        .size:           2
        .value_kind:     hidden_group_size_z
      - .offset:         50
        .size:           2
        .value_kind:     hidden_remainder_x
      - .offset:         52
        .size:           2
        .value_kind:     hidden_remainder_y
      - .offset:         54
        .size:           2
        .value_kind:     hidden_remainder_z
      - .offset:         72
        .size:           8
        .value_kind:     hidden_global_offset_x
      - .offset:         80
        .size:           8
        .value_kind:     hidden_global_offset_y
      - .offset:         88
        .size:           8
        .value_kind:     hidden_global_offset_z
      - .offset:         96
        .size:           2
        .value_kind:     hidden_grid_dims
    .group_segment_fixed_size: 0
    .kernarg_segment_align: 8
    .kernarg_segment_size: 288
    .language:       OpenCL C
    .language_version:
      - 2
      - 0
    .max_flat_workgroup_size: 1024
    .name:           _ZN9rocsolver6v33100L9get_arrayI19rocblas_complex_numIfEiEEvPPT_S5_lT0_
    .private_segment_fixed_size: 0
    .sgpr_count:     14
    .sgpr_spill_count: 0
    .symbol:         _ZN9rocsolver6v33100L9get_arrayI19rocblas_complex_numIfEiEEvPPT_S5_lT0_.kd
    .uniform_work_group_size: 1
    .uses_dynamic_stack: false
    .vgpr_count:     10
    .vgpr_spill_count: 0
    .wavefront_size: 64
  - .agpr_count:     0
    .args:
      - .address_space:  global
        .offset:         0
        .size:           8
        .value_kind:     global_buffer
      - .offset:         8
        .size:           8
        .value_kind:     by_value
      - .offset:         16
        .size:           8
        .value_kind:     by_value
      - .address_space:  global
        .offset:         24
        .size:           8
        .value_kind:     global_buffer
      - .offset:         32
        .size:           8
        .value_kind:     by_value
      - .offset:         40
        .size:           4
        .value_kind:     by_value
      - .offset:         48
        .size:           8
        .value_kind:     by_value
      - .offset:         56
        .size:           4
        .value_kind:     by_value
      - .offset:         64
        .size:           4
        .value_kind:     hidden_block_count_x
      - .offset:         68
        .size:           4
        .value_kind:     hidden_block_count_y
      - .offset:         72
        .size:           4
        .value_kind:     hidden_block_count_z
      - .offset:         76
        .size:           2
        .value_kind:     hidden_group_size_x
      - .offset:         78
        .size:           2
        .value_kind:     hidden_group_size_y
      - .offset:         80
        .size:           2
        .value_kind:     hidden_group_size_z
      - .offset:         82
        .size:           2
        .value_kind:     hidden_remainder_x
      - .offset:         84
        .size:           2
        .value_kind:     hidden_remainder_y
      - .offset:         86
        .size:           2
        .value_kind:     hidden_remainder_z
      - .offset:         104
        .size:           8
        .value_kind:     hidden_global_offset_x
      - .offset:         112
        .size:           8
        .value_kind:     hidden_global_offset_y
      - .offset:         120
        .size:           8
        .value_kind:     hidden_global_offset_z
      - .offset:         128
        .size:           2
        .value_kind:     hidden_grid_dims
    .group_segment_fixed_size: 0
    .kernarg_segment_align: 8
    .kernarg_segment_size: 320
    .language:       OpenCL C
    .language_version:
      - 2
      - 0
    .max_flat_workgroup_size: 1024
    .name:           _ZN9rocsolver6v33100L12restore_diagI19rocblas_complex_numIfEifPKPS3_EEvPT1_llT2_lT0_lSA_
    .private_segment_fixed_size: 0
    .sgpr_count:     23
    .sgpr_spill_count: 0
    .symbol:         _ZN9rocsolver6v33100L12restore_diagI19rocblas_complex_numIfEifPKPS3_EEvPT1_llT2_lT0_lSA_.kd
    .uniform_work_group_size: 1
    .uses_dynamic_stack: false
    .vgpr_count:     4
    .vgpr_spill_count: 0
    .wavefront_size: 64
  - .agpr_count:     0
    .args:
      - .address_space:  global
        .offset:         0
        .size:           8
        .value_kind:     global_buffer
      - .offset:         8
        .size:           4
        .value_kind:     by_value
      - .offset:         16
        .size:           16
        .value_kind:     by_value
    .group_segment_fixed_size: 0
    .kernarg_segment_align: 8
    .kernarg_segment_size: 32
    .language:       OpenCL C
    .language_version:
      - 2
      - 0
    .max_flat_workgroup_size: 32
    .name:           _ZN9rocsolver6v33100L6iota_nI19rocblas_complex_numIdEEEvPT_jS4_
    .private_segment_fixed_size: 0
    .sgpr_count:     14
    .sgpr_spill_count: 0
    .symbol:         _ZN9rocsolver6v33100L6iota_nI19rocblas_complex_numIdEEEvPT_jS4_.kd
    .uniform_work_group_size: 1
    .uses_dynamic_stack: false
    .vgpr_count:     5
    .vgpr_spill_count: 0
    .wavefront_size: 64
  - .agpr_count:     0
    .args:
      - .offset:         0
        .size:           4
        .value_kind:     by_value
      - .offset:         4
        .size:           4
        .value_kind:     by_value
      - .address_space:  global
        .offset:         8
        .size:           8
        .value_kind:     global_buffer
      - .offset:         16
        .size:           8
        .value_kind:     by_value
      - .offset:         24
        .size:           4
        .value_kind:     by_value
      - .offset:         32
        .size:           8
        .value_kind:     by_value
      - .address_space:  global
        .offset:         40
        .size:           8
        .value_kind:     global_buffer
      - .offset:         48
        .size:           8
        .value_kind:     by_value
      - .address_space:  global
        .offset:         56
        .size:           8
        .value_kind:     global_buffer
      - .offset:         64
        .size:           8
        .value_kind:     by_value
    .group_segment_fixed_size: 0
    .kernarg_segment_align: 8
    .kernarg_segment_size: 72
    .language:       OpenCL C
    .language_version:
      - 2
      - 0
    .max_flat_workgroup_size: 256
    .name:           _ZN9rocsolver6v33100L18geqr2_kernel_smallILi256E19rocblas_complex_numIdEidPKPS3_EEvT1_S7_T3_lS7_lPT2_lPT0_l
    .private_segment_fixed_size: 0
    .sgpr_count:     54
    .sgpr_spill_count: 0
    .symbol:         _ZN9rocsolver6v33100L18geqr2_kernel_smallILi256E19rocblas_complex_numIdEidPKPS3_EEvT1_S7_T3_lS7_lPT2_lPT0_l.kd
    .uniform_work_group_size: 1
    .uses_dynamic_stack: false
    .vgpr_count:     42
    .vgpr_spill_count: 0
    .wavefront_size: 64
  - .agpr_count:     0
    .args:
      - .address_space:  global
        .offset:         0
        .size:           8
        .value_kind:     global_buffer
      - .offset:         8
        .size:           8
        .value_kind:     by_value
      - .offset:         16
        .size:           4
        .value_kind:     by_value
      - .offset:         20
        .size:           4
        .value_kind:     by_value
      - .offset:         24
        .size:           4
        .value_kind:     hidden_block_count_x
      - .offset:         28
        .size:           4
        .value_kind:     hidden_block_count_y
      - .offset:         32
        .size:           4
        .value_kind:     hidden_block_count_z
      - .offset:         36
        .size:           2
        .value_kind:     hidden_group_size_x
      - .offset:         38
        .size:           2
        .value_kind:     hidden_group_size_y
      - .offset:         40
        .size:           2
        .value_kind:     hidden_group_size_z
      - .offset:         42
        .size:           2
        .value_kind:     hidden_remainder_x
      - .offset:         44
        .size:           2
        .value_kind:     hidden_remainder_y
      - .offset:         46
        .size:           2
        .value_kind:     hidden_remainder_z
      - .offset:         64
        .size:           8
        .value_kind:     hidden_global_offset_x
      - .offset:         72
        .size:           8
        .value_kind:     hidden_global_offset_y
      - .offset:         80
        .size:           8
        .value_kind:     hidden_global_offset_z
      - .offset:         88
        .size:           2
        .value_kind:     hidden_grid_dims
    .group_segment_fixed_size: 0
    .kernarg_segment_align: 8
    .kernarg_segment_size: 280
    .language:       OpenCL C
    .language_version:
      - 2
      - 0
    .max_flat_workgroup_size: 1024
    .name:           _ZN9rocsolver6v33100L16reset_batch_infoI19rocblas_complex_numIdEiiPS3_EEvT2_lT0_T1_
    .private_segment_fixed_size: 0
    .sgpr_count:     18
    .sgpr_spill_count: 0
    .symbol:         _ZN9rocsolver6v33100L16reset_batch_infoI19rocblas_complex_numIdEiiPS3_EEvT2_lT0_T1_.kd
    .uniform_work_group_size: 1
    .uses_dynamic_stack: false
    .vgpr_count:     6
    .vgpr_spill_count: 0
    .wavefront_size: 64
  - .agpr_count:     0
    .args:
      - .address_space:  global
        .offset:         0
        .size:           8
        .value_kind:     global_buffer
      - .offset:         8
        .size:           8
        .value_kind:     by_value
      - .offset:         16
        .size:           8
        .value_kind:     by_value
      - .address_space:  global
        .offset:         24
        .size:           8
        .value_kind:     global_buffer
      - .offset:         32
        .size:           8
        .value_kind:     by_value
      - .offset:         40
        .size:           4
        .value_kind:     by_value
      - .offset:         48
        .size:           8
        .value_kind:     by_value
      - .offset:         56
        .size:           4
        .value_kind:     by_value
      - .offset:         60
        .size:           1
        .value_kind:     by_value
      - .offset:         64
        .size:           4
        .value_kind:     hidden_block_count_x
      - .offset:         68
        .size:           4
        .value_kind:     hidden_block_count_y
      - .offset:         72
        .size:           4
        .value_kind:     hidden_block_count_z
      - .offset:         76
        .size:           2
        .value_kind:     hidden_group_size_x
      - .offset:         78
        .size:           2
        .value_kind:     hidden_group_size_y
      - .offset:         80
        .size:           2
        .value_kind:     hidden_group_size_z
      - .offset:         82
        .size:           2
        .value_kind:     hidden_remainder_x
      - .offset:         84
        .size:           2
        .value_kind:     hidden_remainder_y
      - .offset:         86
        .size:           2
        .value_kind:     hidden_remainder_z
      - .offset:         104
        .size:           8
        .value_kind:     hidden_global_offset_x
      - .offset:         112
        .size:           8
        .value_kind:     hidden_global_offset_y
      - .offset:         120
        .size:           8
        .value_kind:     hidden_global_offset_z
      - .offset:         128
        .size:           2
        .value_kind:     hidden_grid_dims
    .group_segment_fixed_size: 0
    .kernarg_segment_align: 8
    .kernarg_segment_size: 320
    .language:       OpenCL C
    .language_version:
      - 2
      - 0
    .max_flat_workgroup_size: 1024
    .name:           _ZN9rocsolver6v33100L8set_diagI19rocblas_complex_numIdEidPKPS3_TnNSt9enable_ifIXaa18rocblas_is_complexIT_Ent18rocblas_is_complexIT1_EEiE4typeELi0EEEvPS9_llT2_lT0_lSE_b
    .private_segment_fixed_size: 0
    .sgpr_count:     25
    .sgpr_spill_count: 0
    .symbol:         _ZN9rocsolver6v33100L8set_diagI19rocblas_complex_numIdEidPKPS3_TnNSt9enable_ifIXaa18rocblas_is_complexIT_Ent18rocblas_is_complexIT1_EEiE4typeELi0EEEvPS9_llT2_lT0_lSE_b.kd
    .uniform_work_group_size: 1
    .uses_dynamic_stack: false
    .vgpr_count:     6
    .vgpr_spill_count: 0
    .wavefront_size: 64
  - .agpr_count:     0
    .args:
      - .address_space:  global
        .offset:         0
        .size:           8
        .value_kind:     global_buffer
      - .offset:         8
        .size:           8
        .value_kind:     by_value
      - .address_space:  global
        .offset:         16
        .size:           8
        .value_kind:     global_buffer
      - .address_space:  global
        .offset:         24
        .size:           8
        .value_kind:     global_buffer
      - .offset:         32
        .size:           8
        .value_kind:     by_value
      - .offset:         40
        .size:           8
        .value_kind:     by_value
      - .address_space:  global
        .offset:         48
        .size:           8
        .value_kind:     global_buffer
      - .offset:         56
        .size:           8
        .value_kind:     by_value
      - .offset:         64
        .size:           8
        .value_kind:     by_value
    .group_segment_fixed_size: 0
    .kernarg_segment_align: 8
    .kernarg_segment_size: 72
    .language:       OpenCL C
    .language_version:
      - 2
      - 0
    .max_flat_workgroup_size: 1024
    .name:           _ZN9rocsolver6v33100L11set_taubetaI19rocblas_complex_numIdEidPKPS3_EEvPT_lS8_T2_llPT1_ll
    .private_segment_fixed_size: 0
    .sgpr_count:     28
    .sgpr_spill_count: 0
    .symbol:         _ZN9rocsolver6v33100L11set_taubetaI19rocblas_complex_numIdEidPKPS3_EEvPT_lS8_T2_llPT1_ll.kd
    .uniform_work_group_size: 1
    .uses_dynamic_stack: false
    .vgpr_count:     41
    .vgpr_spill_count: 0
    .wavefront_size: 64
  - .agpr_count:     0
    .args:
      - .offset:         0
        .size:           4
        .value_kind:     by_value
      - .offset:         4
        .size:           4
        .value_kind:     by_value
      - .address_space:  global
        .offset:         8
        .size:           8
        .value_kind:     global_buffer
      - .offset:         16
        .size:           8
        .value_kind:     by_value
      - .offset:         24
        .size:           4
        .value_kind:     by_value
      - .offset:         32
        .size:           8
        .value_kind:     by_value
      - .offset:         40
        .size:           4
        .value_kind:     hidden_block_count_x
      - .offset:         44
        .size:           4
        .value_kind:     hidden_block_count_y
      - .offset:         48
        .size:           4
        .value_kind:     hidden_block_count_z
      - .offset:         52
        .size:           2
        .value_kind:     hidden_group_size_x
      - .offset:         54
        .size:           2
        .value_kind:     hidden_group_size_y
      - .offset:         56
        .size:           2
        .value_kind:     hidden_group_size_z
      - .offset:         58
        .size:           2
        .value_kind:     hidden_remainder_x
      - .offset:         60
        .size:           2
        .value_kind:     hidden_remainder_y
      - .offset:         62
        .size:           2
        .value_kind:     hidden_remainder_z
      - .offset:         80
        .size:           8
        .value_kind:     hidden_global_offset_x
      - .offset:         88
        .size:           8
        .value_kind:     hidden_global_offset_y
      - .offset:         96
        .size:           8
        .value_kind:     hidden_global_offset_z
      - .offset:         104
        .size:           2
        .value_kind:     hidden_grid_dims
    .group_segment_fixed_size: 0
    .kernarg_segment_align: 8
    .kernarg_segment_size: 296
    .language:       OpenCL C
    .language_version:
      - 2
      - 0
    .max_flat_workgroup_size: 1024
    .name:           _ZN9rocsolver6v33100L13conj_in_placeI19rocblas_complex_numIdEiPS3_TnNSt9enable_ifIX18rocblas_is_complexIT_EEiE4typeELi0EEEvT0_S9_T1_lS9_l
    .private_segment_fixed_size: 0
    .sgpr_count:     18
    .sgpr_spill_count: 0
    .symbol:         _ZN9rocsolver6v33100L13conj_in_placeI19rocblas_complex_numIdEiPS3_TnNSt9enable_ifIX18rocblas_is_complexIT_EEiE4typeELi0EEEvT0_S9_T1_lS9_l.kd
    .uniform_work_group_size: 1
    .uses_dynamic_stack: false
    .vgpr_count:     8
    .vgpr_spill_count: 0
    .wavefront_size: 64
  - .agpr_count:     0
    .args:
      - .offset:         0
        .size:           4
        .value_kind:     by_value
      - .offset:         4
        .size:           4
        .value_kind:     by_value
      - .address_space:  global
        .offset:         8
        .size:           8
        .value_kind:     global_buffer
      - .offset:         16
        .size:           8
        .value_kind:     by_value
      - .offset:         24
        .size:           4
        .value_kind:     by_value
      - .offset:         32
        .size:           8
        .value_kind:     by_value
      - .address_space:  global
        .offset:         40
        .size:           8
        .value_kind:     global_buffer
      - .offset:         48
        .size:           8
        .value_kind:     by_value
      - .address_space:  global
        .offset:         56
        .size:           8
        .value_kind:     global_buffer
      - .offset:         64
        .size:           8
        .value_kind:     by_value
      - .offset:         72
        .size:           4
        .value_kind:     by_value
      - .offset:         80
        .size:           8
        .value_kind:     by_value
    .group_segment_fixed_size: 0
    .kernarg_segment_align: 8
    .kernarg_segment_size: 88
    .language:       OpenCL C
    .language_version:
      - 2
      - 0
    .max_flat_workgroup_size: 1024
    .name:           _ZN9rocsolver6v33100L16larf_left_kernelILi1024E19rocblas_complex_numIdEiPKPS3_EEvT1_S7_T2_lS7_lPKT0_lS8_lS7_l
    .private_segment_fixed_size: 0
    .sgpr_count:     34
    .sgpr_spill_count: 0
    .symbol:         _ZN9rocsolver6v33100L16larf_left_kernelILi1024E19rocblas_complex_numIdEiPKPS3_EEvT1_S7_T2_lS7_lPKT0_lS8_lS7_l.kd
    .uniform_work_group_size: 1
    .uses_dynamic_stack: false
    .vgpr_count:     22
    .vgpr_spill_count: 0
    .wavefront_size: 64
  - .agpr_count:     0
    .args:
      - .offset:         0
        .size:           4
        .value_kind:     by_value
      - .offset:         4
        .size:           4
        .value_kind:     by_value
      - .address_space:  global
        .offset:         8
        .size:           8
        .value_kind:     global_buffer
      - .offset:         16
        .size:           8
        .value_kind:     by_value
      - .offset:         24
        .size:           4
        .value_kind:     by_value
      - .offset:         32
        .size:           8
        .value_kind:     by_value
      - .address_space:  global
        .offset:         40
        .size:           8
        .value_kind:     global_buffer
      - .offset:         48
        .size:           8
        .value_kind:     by_value
      - .address_space:  global
        .offset:         56
        .size:           8
        .value_kind:     global_buffer
      - .offset:         64
        .size:           8
        .value_kind:     by_value
      - .offset:         72
        .size:           4
        .value_kind:     by_value
      - .offset:         80
        .size:           8
        .value_kind:     by_value
    .group_segment_fixed_size: 0
    .kernarg_segment_align: 8
    .kernarg_segment_size: 88
    .language:       OpenCL C
    .language_version:
      - 2
      - 0
    .max_flat_workgroup_size: 1024
    .name:           _ZN9rocsolver6v33100L17larf_right_kernelILi1024E19rocblas_complex_numIdEiPKPS3_EEvT1_S7_T2_lS7_lPKT0_lS8_lS7_l
    .private_segment_fixed_size: 0
    .sgpr_count:     34
    .sgpr_spill_count: 0
    .symbol:         _ZN9rocsolver6v33100L17larf_right_kernelILi1024E19rocblas_complex_numIdEiPKPS3_EEvT1_S7_T2_lS7_lPKT0_lS8_lS7_l.kd
    .uniform_work_group_size: 1
    .uses_dynamic_stack: false
    .vgpr_count:     23
    .vgpr_spill_count: 0
    .wavefront_size: 64
  - .agpr_count:     0
    .args:
      - .address_space:  global
        .offset:         0
        .size:           8
        .value_kind:     global_buffer
      - .address_space:  global
        .offset:         8
        .size:           8
        .value_kind:     global_buffer
      - .offset:         16
        .size:           8
        .value_kind:     by_value
      - .offset:         24
        .size:           4
        .value_kind:     by_value
      - .offset:         32
        .size:           4
        .value_kind:     hidden_block_count_x
      - .offset:         36
        .size:           4
        .value_kind:     hidden_block_count_y
      - .offset:         40
        .size:           4
        .value_kind:     hidden_block_count_z
      - .offset:         44
        .size:           2
        .value_kind:     hidden_group_size_x
      - .offset:         46
        .size:           2
        .value_kind:     hidden_group_size_y
      - .offset:         48
        .size:           2
        .value_kind:     hidden_group_size_z
      - .offset:         50
        .size:           2
        .value_kind:     hidden_remainder_x
      - .offset:         52
        .size:           2
        .value_kind:     hidden_remainder_y
      - .offset:         54
        .size:           2
        .value_kind:     hidden_remainder_z
      - .offset:         72
        .size:           8
        .value_kind:     hidden_global_offset_x
      - .offset:         80
        .size:           8
        .value_kind:     hidden_global_offset_y
      - .offset:         88
        .size:           8
        .value_kind:     hidden_global_offset_z
      - .offset:         96
        .size:           2
        .value_kind:     hidden_grid_dims
    .group_segment_fixed_size: 0
    .kernarg_segment_align: 8
    .kernarg_segment_size: 288
    .language:       OpenCL C
    .language_version:
      - 2
      - 0
    .max_flat_workgroup_size: 1024
    .name:           _ZN9rocsolver6v33100L9get_arrayI19rocblas_complex_numIdEiEEvPPT_S5_lT0_
    .private_segment_fixed_size: 0
    .sgpr_count:     14
    .sgpr_spill_count: 0
    .symbol:         _ZN9rocsolver6v33100L9get_arrayI19rocblas_complex_numIdEiEEvPPT_S5_lT0_.kd
    .uniform_work_group_size: 1
    .uses_dynamic_stack: false
    .vgpr_count:     10
    .vgpr_spill_count: 0
    .wavefront_size: 64
  - .agpr_count:     0
    .args:
      - .address_space:  global
        .offset:         0
        .size:           8
        .value_kind:     global_buffer
      - .offset:         8
        .size:           8
        .value_kind:     by_value
      - .offset:         16
        .size:           8
        .value_kind:     by_value
      - .address_space:  global
        .offset:         24
        .size:           8
        .value_kind:     global_buffer
      - .offset:         32
        .size:           8
        .value_kind:     by_value
      - .offset:         40
        .size:           4
        .value_kind:     by_value
      - .offset:         48
        .size:           8
        .value_kind:     by_value
      - .offset:         56
        .size:           4
        .value_kind:     by_value
      - .offset:         64
        .size:           4
        .value_kind:     hidden_block_count_x
      - .offset:         68
        .size:           4
        .value_kind:     hidden_block_count_y
      - .offset:         72
        .size:           4
        .value_kind:     hidden_block_count_z
      - .offset:         76
        .size:           2
        .value_kind:     hidden_group_size_x
      - .offset:         78
        .size:           2
        .value_kind:     hidden_group_size_y
      - .offset:         80
        .size:           2
        .value_kind:     hidden_group_size_z
      - .offset:         82
        .size:           2
        .value_kind:     hidden_remainder_x
      - .offset:         84
        .size:           2
        .value_kind:     hidden_remainder_y
      - .offset:         86
        .size:           2
        .value_kind:     hidden_remainder_z
      - .offset:         104
        .size:           8
        .value_kind:     hidden_global_offset_x
      - .offset:         112
        .size:           8
        .value_kind:     hidden_global_offset_y
      - .offset:         120
        .size:           8
        .value_kind:     hidden_global_offset_z
      - .offset:         128
        .size:           2
        .value_kind:     hidden_grid_dims
    .group_segment_fixed_size: 0
    .kernarg_segment_align: 8
    .kernarg_segment_size: 320
    .language:       OpenCL C
    .language_version:
      - 2
      - 0
    .max_flat_workgroup_size: 1024
    .name:           _ZN9rocsolver6v33100L12restore_diagI19rocblas_complex_numIdEidPKPS3_EEvPT1_llT2_lT0_lSA_
    .private_segment_fixed_size: 0
    .sgpr_count:     23
    .sgpr_spill_count: 0
    .symbol:         _ZN9rocsolver6v33100L12restore_diagI19rocblas_complex_numIdEidPKPS3_EEvPT1_llT2_lT0_lSA_.kd
    .uniform_work_group_size: 1
    .uses_dynamic_stack: false
    .vgpr_count:     6
    .vgpr_spill_count: 0
    .wavefront_size: 64
  - .agpr_count:     0
    .args:
      - .offset:         0
        .size:           8
        .value_kind:     by_value
      - .offset:         8
        .size:           8
        .value_kind:     by_value
      - .address_space:  global
        .offset:         16
        .size:           8
        .value_kind:     global_buffer
      - .offset:         24
        .size:           8
        .value_kind:     by_value
      - .offset:         32
        .size:           8
        .value_kind:     by_value
      - .offset:         40
        .size:           8
        .value_kind:     by_value
      - .address_space:  global
        .offset:         48
        .size:           8
        .value_kind:     global_buffer
      - .offset:         56
        .size:           8
        .value_kind:     by_value
      - .address_space:  global
        .offset:         64
        .size:           8
        .value_kind:     global_buffer
      - .offset:         72
        .size:           8
        .value_kind:     by_value
    .group_segment_fixed_size: 0
    .kernarg_segment_align: 8
    .kernarg_segment_size: 80
    .language:       OpenCL C
    .language_version:
      - 2
      - 0
    .max_flat_workgroup_size: 256
    .name:           _ZN9rocsolver6v33100L18geqr2_kernel_smallILi256EflfPKPfEEvT1_S5_T3_lS5_lPT2_lPT0_l
    .private_segment_fixed_size: 0
    .sgpr_count:     62
    .sgpr_spill_count: 0
    .symbol:         _ZN9rocsolver6v33100L18geqr2_kernel_smallILi256EflfPKPfEEvT1_S5_T3_lS5_lPT2_lPT0_l.kd
    .uniform_work_group_size: 1
    .uses_dynamic_stack: false
    .vgpr_count:     27
    .vgpr_spill_count: 0
    .wavefront_size: 64
  - .agpr_count:     0
    .args:
      - .address_space:  global
        .offset:         0
        .size:           8
        .value_kind:     global_buffer
      - .offset:         8
        .size:           8
        .value_kind:     by_value
      - .offset:         16
        .size:           8
        .value_kind:     by_value
      - .address_space:  global
        .offset:         24
        .size:           8
        .value_kind:     global_buffer
      - .offset:         32
        .size:           8
        .value_kind:     by_value
      - .offset:         40
        .size:           8
        .value_kind:     by_value
      - .offset:         48
        .size:           8
        .value_kind:     by_value
      - .offset:         56
        .size:           8
        .value_kind:     by_value
      - .offset:         64
        .size:           1
        .value_kind:     by_value
      - .offset:         72
        .size:           4
        .value_kind:     hidden_block_count_x
      - .offset:         76
        .size:           4
        .value_kind:     hidden_block_count_y
      - .offset:         80
        .size:           4
        .value_kind:     hidden_block_count_z
      - .offset:         84
        .size:           2
        .value_kind:     hidden_group_size_x
      - .offset:         86
        .size:           2
        .value_kind:     hidden_group_size_y
      - .offset:         88
        .size:           2
        .value_kind:     hidden_group_size_z
      - .offset:         90
        .size:           2
        .value_kind:     hidden_remainder_x
      - .offset:         92
        .size:           2
        .value_kind:     hidden_remainder_y
      - .offset:         94
        .size:           2
        .value_kind:     hidden_remainder_z
      - .offset:         112
        .size:           8
        .value_kind:     hidden_global_offset_x
      - .offset:         120
        .size:           8
        .value_kind:     hidden_global_offset_y
      - .offset:         128
        .size:           8
        .value_kind:     hidden_global_offset_z
      - .offset:         136
        .size:           2
        .value_kind:     hidden_grid_dims
    .group_segment_fixed_size: 0
    .kernarg_segment_align: 8
    .kernarg_segment_size: 328
    .language:       OpenCL C
    .language_version:
      - 2
      - 0
    .max_flat_workgroup_size: 1024
    .name:           _ZN9rocsolver6v33100L8set_diagIflfPKPfTnNSt9enable_ifIXoont18rocblas_is_complexIT_E18rocblas_is_complexIT1_EEiE4typeELi0EEEvPS7_llT2_lT0_lSC_b
    .private_segment_fixed_size: 0
    .sgpr_count:     24
    .sgpr_spill_count: 0
    .symbol:         _ZN9rocsolver6v33100L8set_diagIflfPKPfTnNSt9enable_ifIXoont18rocblas_is_complexIT_E18rocblas_is_complexIT1_EEiE4typeELi0EEEvPS7_llT2_lT0_lSC_b.kd
    .uniform_work_group_size: 1
    .uses_dynamic_stack: false
    .vgpr_count:     6
    .vgpr_spill_count: 0
    .wavefront_size: 64
  - .agpr_count:     0
    .args:
      - .address_space:  global
        .offset:         0
        .size:           8
        .value_kind:     global_buffer
      - .offset:         8
        .size:           8
        .value_kind:     by_value
      - .address_space:  global
        .offset:         16
        .size:           8
        .value_kind:     global_buffer
      - .address_space:  global
        .offset:         24
        .size:           8
        .value_kind:     global_buffer
      - .offset:         32
        .size:           8
        .value_kind:     by_value
      - .offset:         40
        .size:           8
        .value_kind:     by_value
      - .address_space:  global
        .offset:         48
        .size:           8
        .value_kind:     global_buffer
      - .offset:         56
        .size:           8
        .value_kind:     by_value
      - .offset:         64
        .size:           8
        .value_kind:     by_value
    .group_segment_fixed_size: 0
    .kernarg_segment_align: 8
    .kernarg_segment_size: 72
    .language:       OpenCL C
    .language_version:
      - 2
      - 0
    .max_flat_workgroup_size: 1024
    .name:           _ZN9rocsolver6v33100L11set_taubetaIflfPKPfEEvPT_lS6_T2_llPT1_ll
    .private_segment_fixed_size: 0
    .sgpr_count:     28
    .sgpr_spill_count: 0
    .symbol:         _ZN9rocsolver6v33100L11set_taubetaIflfPKPfEEvPT_lS6_T2_llPT1_ll.kd
    .uniform_work_group_size: 1
    .uses_dynamic_stack: false
    .vgpr_count:     10
    .vgpr_spill_count: 0
    .wavefront_size: 64
  - .agpr_count:     0
    .args:
      - .offset:         0
        .size:           8
        .value_kind:     by_value
      - .offset:         8
        .size:           8
        .value_kind:     by_value
      - .address_space:  global
        .offset:         16
        .size:           8
        .value_kind:     global_buffer
      - .offset:         24
        .size:           8
        .value_kind:     by_value
      - .offset:         32
        .size:           8
        .value_kind:     by_value
      - .offset:         40
        .size:           8
        .value_kind:     by_value
    .group_segment_fixed_size: 0
    .kernarg_segment_align: 8
    .kernarg_segment_size: 48
    .language:       OpenCL C
    .language_version:
      - 2
      - 0
    .max_flat_workgroup_size: 1024
    .name:           _ZN9rocsolver6v33100L13conj_in_placeIflPfTnNSt9enable_ifIXnt18rocblas_is_complexIT_EEiE4typeELi0EEEvT0_S7_T1_lS7_l
    .private_segment_fixed_size: 0
    .sgpr_count:     6
    .sgpr_spill_count: 0
    .symbol:         _ZN9rocsolver6v33100L13conj_in_placeIflPfTnNSt9enable_ifIXnt18rocblas_is_complexIT_EEiE4typeELi0EEEvT0_S7_T1_lS7_l.kd
    .uniform_work_group_size: 1
    .uses_dynamic_stack: false
    .vgpr_count:     0
    .vgpr_spill_count: 0
    .wavefront_size: 64
  - .agpr_count:     0
    .args:
      - .offset:         0
        .size:           8
        .value_kind:     by_value
      - .offset:         8
        .size:           8
        .value_kind:     by_value
      - .address_space:  global
        .offset:         16
        .size:           8
        .value_kind:     global_buffer
      - .offset:         24
        .size:           8
        .value_kind:     by_value
      - .offset:         32
        .size:           8
        .value_kind:     by_value
      - .offset:         40
        .size:           8
        .value_kind:     by_value
      - .address_space:  global
        .offset:         48
        .size:           8
        .value_kind:     global_buffer
      - .offset:         56
        .size:           8
        .value_kind:     by_value
      - .address_space:  global
        .offset:         64
        .size:           8
        .value_kind:     global_buffer
      - .offset:         72
        .size:           8
        .value_kind:     by_value
      - .offset:         80
        .size:           8
        .value_kind:     by_value
      - .offset:         88
        .size:           8
        .value_kind:     by_value
    .group_segment_fixed_size: 0
    .kernarg_segment_align: 8
    .kernarg_segment_size: 96
    .language:       OpenCL C
    .language_version:
      - 2
      - 0
    .max_flat_workgroup_size: 1024
    .name:           _ZN9rocsolver6v33100L16larf_left_kernelILi1024EflPKPfEEvT1_S5_T2_lS5_lPKT0_lS6_lS5_l
    .private_segment_fixed_size: 0
    .sgpr_count:     33
    .sgpr_spill_count: 0
    .symbol:         _ZN9rocsolver6v33100L16larf_left_kernelILi1024EflPKPfEEvT1_S5_T2_lS5_lPKT0_lS6_lS5_l.kd
    .uniform_work_group_size: 1
    .uses_dynamic_stack: false
    .vgpr_count:     15
    .vgpr_spill_count: 0
    .wavefront_size: 64
  - .agpr_count:     0
    .args:
      - .offset:         0
        .size:           8
        .value_kind:     by_value
      - .offset:         8
        .size:           8
        .value_kind:     by_value
      - .address_space:  global
        .offset:         16
        .size:           8
        .value_kind:     global_buffer
      - .offset:         24
        .size:           8
        .value_kind:     by_value
      - .offset:         32
        .size:           8
        .value_kind:     by_value
      - .offset:         40
        .size:           8
        .value_kind:     by_value
      - .address_space:  global
        .offset:         48
        .size:           8
        .value_kind:     global_buffer
      - .offset:         56
        .size:           8
        .value_kind:     by_value
      - .address_space:  global
        .offset:         64
        .size:           8
        .value_kind:     global_buffer
      - .offset:         72
        .size:           8
        .value_kind:     by_value
      - .offset:         80
        .size:           8
        .value_kind:     by_value
      - .offset:         88
        .size:           8
        .value_kind:     by_value
    .group_segment_fixed_size: 0
    .kernarg_segment_align: 8
    .kernarg_segment_size: 96
    .language:       OpenCL C
    .language_version:
      - 2
      - 0
    .max_flat_workgroup_size: 1024
    .name:           _ZN9rocsolver6v33100L17larf_right_kernelILi1024EflPKPfEEvT1_S5_T2_lS5_lPKT0_lS6_lS5_l
    .private_segment_fixed_size: 0
    .sgpr_count:     34
    .sgpr_spill_count: 0
    .symbol:         _ZN9rocsolver6v33100L17larf_right_kernelILi1024EflPKPfEEvT1_S5_T2_lS5_lPKT0_lS6_lS5_l.kd
    .uniform_work_group_size: 1
    .uses_dynamic_stack: false
    .vgpr_count:     16
    .vgpr_spill_count: 0
    .wavefront_size: 64
  - .agpr_count:     0
    .args:
      - .address_space:  global
        .offset:         0
        .size:           8
        .value_kind:     global_buffer
      - .address_space:  global
        .offset:         8
        .size:           8
        .value_kind:     global_buffer
      - .offset:         16
        .size:           8
        .value_kind:     by_value
      - .offset:         24
        .size:           8
        .value_kind:     by_value
      - .offset:         32
        .size:           4
        .value_kind:     hidden_block_count_x
      - .offset:         36
        .size:           4
        .value_kind:     hidden_block_count_y
      - .offset:         40
        .size:           4
        .value_kind:     hidden_block_count_z
      - .offset:         44
        .size:           2
        .value_kind:     hidden_group_size_x
      - .offset:         46
        .size:           2
        .value_kind:     hidden_group_size_y
      - .offset:         48
        .size:           2
        .value_kind:     hidden_group_size_z
      - .offset:         50
        .size:           2
        .value_kind:     hidden_remainder_x
      - .offset:         52
        .size:           2
        .value_kind:     hidden_remainder_y
      - .offset:         54
        .size:           2
        .value_kind:     hidden_remainder_z
      - .offset:         72
        .size:           8
        .value_kind:     hidden_global_offset_x
      - .offset:         80
        .size:           8
        .value_kind:     hidden_global_offset_y
      - .offset:         88
        .size:           8
        .value_kind:     hidden_global_offset_z
      - .offset:         96
        .size:           2
        .value_kind:     hidden_grid_dims
    .group_segment_fixed_size: 0
    .kernarg_segment_align: 8
    .kernarg_segment_size: 288
    .language:       OpenCL C
    .language_version:
      - 2
      - 0
    .max_flat_workgroup_size: 1024
    .name:           _ZN9rocsolver6v33100L9get_arrayIflEEvPPT_S3_lT0_
    .private_segment_fixed_size: 0
    .sgpr_count:     18
    .sgpr_spill_count: 0
    .symbol:         _ZN9rocsolver6v33100L9get_arrayIflEEvPPT_S3_lT0_.kd
    .uniform_work_group_size: 1
    .uses_dynamic_stack: false
    .vgpr_count:     10
    .vgpr_spill_count: 0
    .wavefront_size: 64
  - .agpr_count:     0
    .args:
      - .address_space:  global
        .offset:         0
        .size:           8
        .value_kind:     global_buffer
      - .offset:         8
        .size:           8
        .value_kind:     by_value
      - .offset:         16
        .size:           8
        .value_kind:     by_value
      - .address_space:  global
        .offset:         24
        .size:           8
        .value_kind:     global_buffer
      - .offset:         32
        .size:           8
        .value_kind:     by_value
      - .offset:         40
        .size:           8
        .value_kind:     by_value
      - .offset:         48
        .size:           8
        .value_kind:     by_value
      - .offset:         56
        .size:           8
        .value_kind:     by_value
      - .offset:         64
        .size:           4
        .value_kind:     hidden_block_count_x
      - .offset:         68
        .size:           4
        .value_kind:     hidden_block_count_y
      - .offset:         72
        .size:           4
        .value_kind:     hidden_block_count_z
      - .offset:         76
        .size:           2
        .value_kind:     hidden_group_size_x
      - .offset:         78
        .size:           2
        .value_kind:     hidden_group_size_y
      - .offset:         80
        .size:           2
        .value_kind:     hidden_group_size_z
      - .offset:         82
        .size:           2
        .value_kind:     hidden_remainder_x
      - .offset:         84
        .size:           2
        .value_kind:     hidden_remainder_y
      - .offset:         86
        .size:           2
        .value_kind:     hidden_remainder_z
      - .offset:         104
        .size:           8
        .value_kind:     hidden_global_offset_x
      - .offset:         112
        .size:           8
        .value_kind:     hidden_global_offset_y
      - .offset:         120
        .size:           8
        .value_kind:     hidden_global_offset_z
      - .offset:         128
        .size:           2
        .value_kind:     hidden_grid_dims
    .group_segment_fixed_size: 0
    .kernarg_segment_align: 8
    .kernarg_segment_size: 320
    .language:       OpenCL C
    .language_version:
      - 2
      - 0
    .max_flat_workgroup_size: 1024
    .name:           _ZN9rocsolver6v33100L12restore_diagIflfPKPfEEvPT1_llT2_lT0_lS8_
    .private_segment_fixed_size: 0
    .sgpr_count:     22
    .sgpr_spill_count: 0
    .symbol:         _ZN9rocsolver6v33100L12restore_diagIflfPKPfEEvPT1_llT2_lT0_lS8_.kd
    .uniform_work_group_size: 1
    .uses_dynamic_stack: false
    .vgpr_count:     6
    .vgpr_spill_count: 0
    .wavefront_size: 64
  - .agpr_count:     0
    .args:
      - .offset:         0
        .size:           8
        .value_kind:     by_value
      - .offset:         8
        .size:           8
        .value_kind:     by_value
      - .address_space:  global
        .offset:         16
        .size:           8
        .value_kind:     global_buffer
      - .offset:         24
        .size:           8
        .value_kind:     by_value
      - .offset:         32
        .size:           8
        .value_kind:     by_value
      - .offset:         40
        .size:           8
        .value_kind:     by_value
      - .address_space:  global
        .offset:         48
        .size:           8
        .value_kind:     global_buffer
      - .offset:         56
        .size:           8
        .value_kind:     by_value
      - .address_space:  global
        .offset:         64
        .size:           8
        .value_kind:     global_buffer
      - .offset:         72
        .size:           8
        .value_kind:     by_value
    .group_segment_fixed_size: 0
    .kernarg_segment_align: 8
    .kernarg_segment_size: 80
    .language:       OpenCL C
    .language_version:
      - 2
      - 0
    .max_flat_workgroup_size: 256
    .name:           _ZN9rocsolver6v33100L18geqr2_kernel_smallILi256EdldPKPdEEvT1_S5_T3_lS5_lPT2_lPT0_l
    .private_segment_fixed_size: 0
    .sgpr_count:     62
    .sgpr_spill_count: 0
    .symbol:         _ZN9rocsolver6v33100L18geqr2_kernel_smallILi256EdldPKPdEEvT1_S5_T3_lS5_lPT2_lPT0_l.kd
    .uniform_work_group_size: 1
    .uses_dynamic_stack: false
    .vgpr_count:     40
    .vgpr_spill_count: 0
    .wavefront_size: 64
  - .agpr_count:     0
    .args:
      - .address_space:  global
        .offset:         0
        .size:           8
        .value_kind:     global_buffer
      - .offset:         8
        .size:           8
        .value_kind:     by_value
      - .offset:         16
        .size:           8
        .value_kind:     by_value
      - .address_space:  global
        .offset:         24
        .size:           8
        .value_kind:     global_buffer
      - .offset:         32
        .size:           8
        .value_kind:     by_value
      - .offset:         40
        .size:           8
        .value_kind:     by_value
      - .offset:         48
        .size:           8
        .value_kind:     by_value
      - .offset:         56
        .size:           8
        .value_kind:     by_value
      - .offset:         64
        .size:           1
        .value_kind:     by_value
      - .offset:         72
        .size:           4
        .value_kind:     hidden_block_count_x
      - .offset:         76
        .size:           4
        .value_kind:     hidden_block_count_y
      - .offset:         80
        .size:           4
        .value_kind:     hidden_block_count_z
      - .offset:         84
        .size:           2
        .value_kind:     hidden_group_size_x
      - .offset:         86
        .size:           2
        .value_kind:     hidden_group_size_y
      - .offset:         88
        .size:           2
        .value_kind:     hidden_group_size_z
      - .offset:         90
        .size:           2
        .value_kind:     hidden_remainder_x
      - .offset:         92
        .size:           2
        .value_kind:     hidden_remainder_y
      - .offset:         94
        .size:           2
        .value_kind:     hidden_remainder_z
      - .offset:         112
        .size:           8
        .value_kind:     hidden_global_offset_x
      - .offset:         120
        .size:           8
        .value_kind:     hidden_global_offset_y
      - .offset:         128
        .size:           8
        .value_kind:     hidden_global_offset_z
      - .offset:         136
        .size:           2
        .value_kind:     hidden_grid_dims
    .group_segment_fixed_size: 0
    .kernarg_segment_align: 8
    .kernarg_segment_size: 328
    .language:       OpenCL C
    .language_version:
      - 2
      - 0
    .max_flat_workgroup_size: 1024
    .name:           _ZN9rocsolver6v33100L8set_diagIdldPKPdTnNSt9enable_ifIXoont18rocblas_is_complexIT_E18rocblas_is_complexIT1_EEiE4typeELi0EEEvPS7_llT2_lT0_lSC_b
    .private_segment_fixed_size: 0
    .sgpr_count:     23
    .sgpr_spill_count: 0
    .symbol:         _ZN9rocsolver6v33100L8set_diagIdldPKPdTnNSt9enable_ifIXoont18rocblas_is_complexIT_E18rocblas_is_complexIT1_EEiE4typeELi0EEEvPS7_llT2_lT0_lSC_b.kd
    .uniform_work_group_size: 1
    .uses_dynamic_stack: false
    .vgpr_count:     7
    .vgpr_spill_count: 0
    .wavefront_size: 64
  - .agpr_count:     0
    .args:
      - .address_space:  global
        .offset:         0
        .size:           8
        .value_kind:     global_buffer
      - .offset:         8
        .size:           8
        .value_kind:     by_value
      - .address_space:  global
        .offset:         16
        .size:           8
        .value_kind:     global_buffer
      - .address_space:  global
        .offset:         24
        .size:           8
        .value_kind:     global_buffer
      - .offset:         32
        .size:           8
        .value_kind:     by_value
      - .offset:         40
        .size:           8
        .value_kind:     by_value
      - .address_space:  global
        .offset:         48
        .size:           8
        .value_kind:     global_buffer
      - .offset:         56
        .size:           8
        .value_kind:     by_value
      - .offset:         64
        .size:           8
        .value_kind:     by_value
    .group_segment_fixed_size: 0
    .kernarg_segment_align: 8
    .kernarg_segment_size: 72
    .language:       OpenCL C
    .language_version:
      - 2
      - 0
    .max_flat_workgroup_size: 1024
    .name:           _ZN9rocsolver6v33100L11set_taubetaIdldPKPdEEvPT_lS6_T2_llPT1_ll
    .private_segment_fixed_size: 0
    .sgpr_count:     30
    .sgpr_spill_count: 0
    .symbol:         _ZN9rocsolver6v33100L11set_taubetaIdldPKPdEEvPT_lS6_T2_llPT1_ll.kd
    .uniform_work_group_size: 1
    .uses_dynamic_stack: false
    .vgpr_count:     15
    .vgpr_spill_count: 0
    .wavefront_size: 64
  - .agpr_count:     0
    .args:
      - .offset:         0
        .size:           8
        .value_kind:     by_value
      - .offset:         8
        .size:           8
        .value_kind:     by_value
      - .address_space:  global
        .offset:         16
        .size:           8
        .value_kind:     global_buffer
      - .offset:         24
        .size:           8
        .value_kind:     by_value
      - .offset:         32
        .size:           8
        .value_kind:     by_value
      - .offset:         40
        .size:           8
        .value_kind:     by_value
    .group_segment_fixed_size: 0
    .kernarg_segment_align: 8
    .kernarg_segment_size: 48
    .language:       OpenCL C
    .language_version:
      - 2
      - 0
    .max_flat_workgroup_size: 1024
    .name:           _ZN9rocsolver6v33100L13conj_in_placeIdlPdTnNSt9enable_ifIXnt18rocblas_is_complexIT_EEiE4typeELi0EEEvT0_S7_T1_lS7_l
    .private_segment_fixed_size: 0
    .sgpr_count:     6
    .sgpr_spill_count: 0
    .symbol:         _ZN9rocsolver6v33100L13conj_in_placeIdlPdTnNSt9enable_ifIXnt18rocblas_is_complexIT_EEiE4typeELi0EEEvT0_S7_T1_lS7_l.kd
    .uniform_work_group_size: 1
    .uses_dynamic_stack: false
    .vgpr_count:     0
    .vgpr_spill_count: 0
    .wavefront_size: 64
  - .agpr_count:     0
    .args:
      - .offset:         0
        .size:           8
        .value_kind:     by_value
      - .offset:         8
        .size:           8
        .value_kind:     by_value
      - .address_space:  global
        .offset:         16
        .size:           8
        .value_kind:     global_buffer
      - .offset:         24
        .size:           8
        .value_kind:     by_value
      - .offset:         32
        .size:           8
        .value_kind:     by_value
      - .offset:         40
        .size:           8
        .value_kind:     by_value
      - .address_space:  global
        .offset:         48
        .size:           8
        .value_kind:     global_buffer
      - .offset:         56
        .size:           8
        .value_kind:     by_value
      - .address_space:  global
        .offset:         64
        .size:           8
        .value_kind:     global_buffer
      - .offset:         72
        .size:           8
        .value_kind:     by_value
      - .offset:         80
        .size:           8
        .value_kind:     by_value
      - .offset:         88
        .size:           8
        .value_kind:     by_value
    .group_segment_fixed_size: 0
    .kernarg_segment_align: 8
    .kernarg_segment_size: 96
    .language:       OpenCL C
    .language_version:
      - 2
      - 0
    .max_flat_workgroup_size: 1024
    .name:           _ZN9rocsolver6v33100L16larf_left_kernelILi1024EdlPKPdEEvT1_S5_T2_lS5_lPKT0_lS6_lS5_l
    .private_segment_fixed_size: 0
    .sgpr_count:     33
    .sgpr_spill_count: 0
    .symbol:         _ZN9rocsolver6v33100L16larf_left_kernelILi1024EdlPKPdEEvT1_S5_T2_lS5_lPKT0_lS6_lS5_l.kd
    .uniform_work_group_size: 1
    .uses_dynamic_stack: false
    .vgpr_count:     25
    .vgpr_spill_count: 0
    .wavefront_size: 64
  - .agpr_count:     0
    .args:
      - .offset:         0
        .size:           8
        .value_kind:     by_value
      - .offset:         8
        .size:           8
        .value_kind:     by_value
      - .address_space:  global
        .offset:         16
        .size:           8
        .value_kind:     global_buffer
      - .offset:         24
        .size:           8
        .value_kind:     by_value
      - .offset:         32
        .size:           8
        .value_kind:     by_value
      - .offset:         40
        .size:           8
        .value_kind:     by_value
      - .address_space:  global
        .offset:         48
        .size:           8
        .value_kind:     global_buffer
      - .offset:         56
        .size:           8
        .value_kind:     by_value
      - .address_space:  global
        .offset:         64
        .size:           8
        .value_kind:     global_buffer
      - .offset:         72
        .size:           8
        .value_kind:     by_value
      - .offset:         80
        .size:           8
        .value_kind:     by_value
      - .offset:         88
        .size:           8
        .value_kind:     by_value
    .group_segment_fixed_size: 0
    .kernarg_segment_align: 8
    .kernarg_segment_size: 96
    .language:       OpenCL C
    .language_version:
      - 2
      - 0
    .max_flat_workgroup_size: 1024
    .name:           _ZN9rocsolver6v33100L17larf_right_kernelILi1024EdlPKPdEEvT1_S5_T2_lS5_lPKT0_lS6_lS5_l
    .private_segment_fixed_size: 0
    .sgpr_count:     34
    .sgpr_spill_count: 0
    .symbol:         _ZN9rocsolver6v33100L17larf_right_kernelILi1024EdlPKPdEEvT1_S5_T2_lS5_lPKT0_lS6_lS5_l.kd
    .uniform_work_group_size: 1
    .uses_dynamic_stack: false
    .vgpr_count:     26
    .vgpr_spill_count: 0
    .wavefront_size: 64
  - .agpr_count:     0
    .args:
      - .address_space:  global
        .offset:         0
        .size:           8
        .value_kind:     global_buffer
      - .address_space:  global
        .offset:         8
        .size:           8
        .value_kind:     global_buffer
      - .offset:         16
        .size:           8
        .value_kind:     by_value
      - .offset:         24
        .size:           8
        .value_kind:     by_value
      - .offset:         32
        .size:           4
        .value_kind:     hidden_block_count_x
      - .offset:         36
        .size:           4
        .value_kind:     hidden_block_count_y
      - .offset:         40
        .size:           4
        .value_kind:     hidden_block_count_z
      - .offset:         44
        .size:           2
        .value_kind:     hidden_group_size_x
      - .offset:         46
        .size:           2
        .value_kind:     hidden_group_size_y
      - .offset:         48
        .size:           2
        .value_kind:     hidden_group_size_z
      - .offset:         50
        .size:           2
        .value_kind:     hidden_remainder_x
      - .offset:         52
        .size:           2
        .value_kind:     hidden_remainder_y
      - .offset:         54
        .size:           2
        .value_kind:     hidden_remainder_z
      - .offset:         72
        .size:           8
        .value_kind:     hidden_global_offset_x
      - .offset:         80
        .size:           8
        .value_kind:     hidden_global_offset_y
      - .offset:         88
        .size:           8
        .value_kind:     hidden_global_offset_z
      - .offset:         96
        .size:           2
        .value_kind:     hidden_grid_dims
    .group_segment_fixed_size: 0
    .kernarg_segment_align: 8
    .kernarg_segment_size: 288
    .language:       OpenCL C
    .language_version:
      - 2
      - 0
    .max_flat_workgroup_size: 1024
    .name:           _ZN9rocsolver6v33100L9get_arrayIdlEEvPPT_S3_lT0_
    .private_segment_fixed_size: 0
    .sgpr_count:     18
    .sgpr_spill_count: 0
    .symbol:         _ZN9rocsolver6v33100L9get_arrayIdlEEvPPT_S3_lT0_.kd
    .uniform_work_group_size: 1
    .uses_dynamic_stack: false
    .vgpr_count:     10
    .vgpr_spill_count: 0
    .wavefront_size: 64
  - .agpr_count:     0
    .args:
      - .address_space:  global
        .offset:         0
        .size:           8
        .value_kind:     global_buffer
      - .offset:         8
        .size:           8
        .value_kind:     by_value
      - .offset:         16
        .size:           8
        .value_kind:     by_value
      - .address_space:  global
        .offset:         24
        .size:           8
        .value_kind:     global_buffer
      - .offset:         32
        .size:           8
        .value_kind:     by_value
      - .offset:         40
        .size:           8
        .value_kind:     by_value
      - .offset:         48
        .size:           8
        .value_kind:     by_value
      - .offset:         56
        .size:           8
        .value_kind:     by_value
      - .offset:         64
        .size:           4
        .value_kind:     hidden_block_count_x
      - .offset:         68
        .size:           4
        .value_kind:     hidden_block_count_y
      - .offset:         72
        .size:           4
        .value_kind:     hidden_block_count_z
      - .offset:         76
        .size:           2
        .value_kind:     hidden_group_size_x
      - .offset:         78
        .size:           2
        .value_kind:     hidden_group_size_y
      - .offset:         80
        .size:           2
        .value_kind:     hidden_group_size_z
      - .offset:         82
        .size:           2
        .value_kind:     hidden_remainder_x
      - .offset:         84
        .size:           2
        .value_kind:     hidden_remainder_y
      - .offset:         86
        .size:           2
        .value_kind:     hidden_remainder_z
      - .offset:         104
        .size:           8
        .value_kind:     hidden_global_offset_x
      - .offset:         112
        .size:           8
        .value_kind:     hidden_global_offset_y
      - .offset:         120
        .size:           8
        .value_kind:     hidden_global_offset_z
      - .offset:         128
        .size:           2
        .value_kind:     hidden_grid_dims
    .group_segment_fixed_size: 0
    .kernarg_segment_align: 8
    .kernarg_segment_size: 320
    .language:       OpenCL C
    .language_version:
      - 2
      - 0
    .max_flat_workgroup_size: 1024
    .name:           _ZN9rocsolver6v33100L12restore_diagIdldPKPdEEvPT1_llT2_lT0_lS8_
    .private_segment_fixed_size: 0
    .sgpr_count:     22
    .sgpr_spill_count: 0
    .symbol:         _ZN9rocsolver6v33100L12restore_diagIdldPKPdEEvPT1_llT2_lT0_lS8_.kd
    .uniform_work_group_size: 1
    .uses_dynamic_stack: false
    .vgpr_count:     8
    .vgpr_spill_count: 0
    .wavefront_size: 64
  - .agpr_count:     0
    .args:
      - .offset:         0
        .size:           8
        .value_kind:     by_value
      - .offset:         8
        .size:           8
        .value_kind:     by_value
      - .address_space:  global
        .offset:         16
        .size:           8
        .value_kind:     global_buffer
      - .offset:         24
        .size:           8
        .value_kind:     by_value
      - .offset:         32
        .size:           8
        .value_kind:     by_value
      - .offset:         40
        .size:           8
        .value_kind:     by_value
      - .address_space:  global
        .offset:         48
        .size:           8
        .value_kind:     global_buffer
      - .offset:         56
        .size:           8
        .value_kind:     by_value
      - .address_space:  global
        .offset:         64
        .size:           8
        .value_kind:     global_buffer
      - .offset:         72
        .size:           8
        .value_kind:     by_value
    .group_segment_fixed_size: 0
    .kernarg_segment_align: 8
    .kernarg_segment_size: 80
    .language:       OpenCL C
    .language_version:
      - 2
      - 0
    .max_flat_workgroup_size: 256
    .name:           _ZN9rocsolver6v33100L18geqr2_kernel_smallILi256E19rocblas_complex_numIfElfPKPS3_EEvT1_S7_T3_lS7_lPT2_lPT0_l
    .private_segment_fixed_size: 0
    .sgpr_count:     59
    .sgpr_spill_count: 0
    .symbol:         _ZN9rocsolver6v33100L18geqr2_kernel_smallILi256E19rocblas_complex_numIfElfPKPS3_EEvT1_S7_T3_lS7_lPT2_lPT0_l.kd
    .uniform_work_group_size: 1
    .uses_dynamic_stack: false
    .vgpr_count:     36
    .vgpr_spill_count: 0
    .wavefront_size: 64
  - .agpr_count:     0
    .args:
      - .address_space:  global
        .offset:         0
        .size:           8
        .value_kind:     global_buffer
      - .offset:         8
        .size:           8
        .value_kind:     by_value
      - .offset:         16
        .size:           8
        .value_kind:     by_value
      - .address_space:  global
        .offset:         24
        .size:           8
        .value_kind:     global_buffer
      - .offset:         32
        .size:           8
        .value_kind:     by_value
      - .offset:         40
        .size:           8
        .value_kind:     by_value
      - .offset:         48
        .size:           8
        .value_kind:     by_value
      - .offset:         56
        .size:           8
        .value_kind:     by_value
      - .offset:         64
        .size:           1
        .value_kind:     by_value
      - .offset:         72
        .size:           4
        .value_kind:     hidden_block_count_x
      - .offset:         76
        .size:           4
        .value_kind:     hidden_block_count_y
      - .offset:         80
        .size:           4
        .value_kind:     hidden_block_count_z
      - .offset:         84
        .size:           2
        .value_kind:     hidden_group_size_x
      - .offset:         86
        .size:           2
        .value_kind:     hidden_group_size_y
      - .offset:         88
        .size:           2
        .value_kind:     hidden_group_size_z
      - .offset:         90
        .size:           2
        .value_kind:     hidden_remainder_x
      - .offset:         92
        .size:           2
        .value_kind:     hidden_remainder_y
      - .offset:         94
        .size:           2
        .value_kind:     hidden_remainder_z
      - .offset:         112
        .size:           8
        .value_kind:     hidden_global_offset_x
      - .offset:         120
        .size:           8
        .value_kind:     hidden_global_offset_y
      - .offset:         128
        .size:           8
        .value_kind:     hidden_global_offset_z
      - .offset:         136
        .size:           2
        .value_kind:     hidden_grid_dims
    .group_segment_fixed_size: 0
    .kernarg_segment_align: 8
    .kernarg_segment_size: 328
    .language:       OpenCL C
    .language_version:
      - 2
      - 0
    .max_flat_workgroup_size: 1024
    .name:           _ZN9rocsolver6v33100L8set_diagI19rocblas_complex_numIfElfPKPS3_TnNSt9enable_ifIXaa18rocblas_is_complexIT_Ent18rocblas_is_complexIT1_EEiE4typeELi0EEEvPS9_llT2_lT0_lSE_b
    .private_segment_fixed_size: 0
    .sgpr_count:     24
    .sgpr_spill_count: 0
    .symbol:         _ZN9rocsolver6v33100L8set_diagI19rocblas_complex_numIfElfPKPS3_TnNSt9enable_ifIXaa18rocblas_is_complexIT_Ent18rocblas_is_complexIT1_EEiE4typeELi0EEEvPS9_llT2_lT0_lSE_b.kd
    .uniform_work_group_size: 1
    .uses_dynamic_stack: false
    .vgpr_count:     8
    .vgpr_spill_count: 0
    .wavefront_size: 64
  - .agpr_count:     0
    .args:
      - .address_space:  global
        .offset:         0
        .size:           8
        .value_kind:     global_buffer
      - .offset:         8
        .size:           8
        .value_kind:     by_value
      - .address_space:  global
        .offset:         16
        .size:           8
        .value_kind:     global_buffer
      - .address_space:  global
        .offset:         24
        .size:           8
        .value_kind:     global_buffer
      - .offset:         32
        .size:           8
        .value_kind:     by_value
      - .offset:         40
        .size:           8
        .value_kind:     by_value
      - .address_space:  global
        .offset:         48
        .size:           8
        .value_kind:     global_buffer
      - .offset:         56
        .size:           8
        .value_kind:     by_value
      - .offset:         64
        .size:           8
        .value_kind:     by_value
    .group_segment_fixed_size: 0
    .kernarg_segment_align: 8
    .kernarg_segment_size: 72
    .language:       OpenCL C
    .language_version:
      - 2
      - 0
    .max_flat_workgroup_size: 1024
    .name:           _ZN9rocsolver6v33100L11set_taubetaI19rocblas_complex_numIfElfPKPS3_EEvPT_lS8_T2_llPT1_ll
    .private_segment_fixed_size: 0
    .sgpr_count:     30
    .sgpr_spill_count: 0
    .symbol:         _ZN9rocsolver6v33100L11set_taubetaI19rocblas_complex_numIfElfPKPS3_EEvPT_lS8_T2_llPT1_ll.kd
    .uniform_work_group_size: 1
    .uses_dynamic_stack: false
    .vgpr_count:     25
    .vgpr_spill_count: 0
    .wavefront_size: 64
  - .agpr_count:     0
    .args:
      - .offset:         0
        .size:           8
        .value_kind:     by_value
      - .offset:         8
        .size:           8
        .value_kind:     by_value
      - .address_space:  global
        .offset:         16
        .size:           8
        .value_kind:     global_buffer
      - .offset:         24
        .size:           8
        .value_kind:     by_value
      - .offset:         32
        .size:           8
        .value_kind:     by_value
      - .offset:         40
        .size:           8
        .value_kind:     by_value
      - .offset:         48
        .size:           4
        .value_kind:     hidden_block_count_x
      - .offset:         52
        .size:           4
        .value_kind:     hidden_block_count_y
      - .offset:         56
        .size:           4
        .value_kind:     hidden_block_count_z
      - .offset:         60
        .size:           2
        .value_kind:     hidden_group_size_x
      - .offset:         62
        .size:           2
        .value_kind:     hidden_group_size_y
      - .offset:         64
        .size:           2
        .value_kind:     hidden_group_size_z
      - .offset:         66
        .size:           2
        .value_kind:     hidden_remainder_x
      - .offset:         68
        .size:           2
        .value_kind:     hidden_remainder_y
      - .offset:         70
        .size:           2
        .value_kind:     hidden_remainder_z
      - .offset:         88
        .size:           8
        .value_kind:     hidden_global_offset_x
      - .offset:         96
        .size:           8
        .value_kind:     hidden_global_offset_y
      - .offset:         104
        .size:           8
        .value_kind:     hidden_global_offset_z
      - .offset:         112
        .size:           2
        .value_kind:     hidden_grid_dims
    .group_segment_fixed_size: 0
    .kernarg_segment_align: 8
    .kernarg_segment_size: 304
    .language:       OpenCL C
    .language_version:
      - 2
      - 0
    .max_flat_workgroup_size: 1024
    .name:           _ZN9rocsolver6v33100L13conj_in_placeI19rocblas_complex_numIfElPS3_TnNSt9enable_ifIX18rocblas_is_complexIT_EEiE4typeELi0EEEvT0_S9_T1_lS9_l
    .private_segment_fixed_size: 0
    .sgpr_count:     22
    .sgpr_spill_count: 0
    .symbol:         _ZN9rocsolver6v33100L13conj_in_placeI19rocblas_complex_numIfElPS3_TnNSt9enable_ifIX18rocblas_is_complexIT_EEiE4typeELi0EEEvT0_S9_T1_lS9_l.kd
    .uniform_work_group_size: 1
    .uses_dynamic_stack: false
    .vgpr_count:     8
    .vgpr_spill_count: 0
    .wavefront_size: 64
  - .agpr_count:     0
    .args:
      - .offset:         0
        .size:           8
        .value_kind:     by_value
      - .offset:         8
        .size:           8
        .value_kind:     by_value
      - .address_space:  global
        .offset:         16
        .size:           8
        .value_kind:     global_buffer
      - .offset:         24
        .size:           8
        .value_kind:     by_value
      - .offset:         32
        .size:           8
        .value_kind:     by_value
      - .offset:         40
        .size:           8
        .value_kind:     by_value
      - .address_space:  global
        .offset:         48
        .size:           8
        .value_kind:     global_buffer
      - .offset:         56
        .size:           8
        .value_kind:     by_value
      - .address_space:  global
        .offset:         64
        .size:           8
        .value_kind:     global_buffer
      - .offset:         72
        .size:           8
        .value_kind:     by_value
      - .offset:         80
        .size:           8
        .value_kind:     by_value
      - .offset:         88
        .size:           8
        .value_kind:     by_value
    .group_segment_fixed_size: 0
    .kernarg_segment_align: 8
    .kernarg_segment_size: 96
    .language:       OpenCL C
    .language_version:
      - 2
      - 0
    .max_flat_workgroup_size: 1024
    .name:           _ZN9rocsolver6v33100L16larf_left_kernelILi1024E19rocblas_complex_numIfElPKPS3_EEvT1_S7_T2_lS7_lPKT0_lS8_lS7_l
    .private_segment_fixed_size: 0
    .sgpr_count:     34
    .sgpr_spill_count: 0
    .symbol:         _ZN9rocsolver6v33100L16larf_left_kernelILi1024E19rocblas_complex_numIfElPKPS3_EEvT1_S7_T2_lS7_lPKT0_lS8_lS7_l.kd
    .uniform_work_group_size: 1
    .uses_dynamic_stack: false
    .vgpr_count:     25
    .vgpr_spill_count: 0
    .wavefront_size: 64
  - .agpr_count:     0
    .args:
      - .offset:         0
        .size:           8
        .value_kind:     by_value
      - .offset:         8
        .size:           8
        .value_kind:     by_value
      - .address_space:  global
        .offset:         16
        .size:           8
        .value_kind:     global_buffer
      - .offset:         24
        .size:           8
        .value_kind:     by_value
      - .offset:         32
        .size:           8
        .value_kind:     by_value
      - .offset:         40
        .size:           8
        .value_kind:     by_value
      - .address_space:  global
        .offset:         48
        .size:           8
        .value_kind:     global_buffer
      - .offset:         56
        .size:           8
        .value_kind:     by_value
      - .address_space:  global
        .offset:         64
        .size:           8
        .value_kind:     global_buffer
      - .offset:         72
        .size:           8
        .value_kind:     by_value
      - .offset:         80
        .size:           8
        .value_kind:     by_value
      - .offset:         88
        .size:           8
        .value_kind:     by_value
    .group_segment_fixed_size: 0
    .kernarg_segment_align: 8
    .kernarg_segment_size: 96
    .language:       OpenCL C
    .language_version:
      - 2
      - 0
    .max_flat_workgroup_size: 1024
    .name:           _ZN9rocsolver6v33100L17larf_right_kernelILi1024E19rocblas_complex_numIfElPKPS3_EEvT1_S7_T2_lS7_lPKT0_lS8_lS7_l
    .private_segment_fixed_size: 0
    .sgpr_count:     34
    .sgpr_spill_count: 0
    .symbol:         _ZN9rocsolver6v33100L17larf_right_kernelILi1024E19rocblas_complex_numIfElPKPS3_EEvT1_S7_T2_lS7_lPKT0_lS8_lS7_l.kd
    .uniform_work_group_size: 1
    .uses_dynamic_stack: false
    .vgpr_count:     26
    .vgpr_spill_count: 0
    .wavefront_size: 64
  - .agpr_count:     0
    .args:
      - .address_space:  global
        .offset:         0
        .size:           8
        .value_kind:     global_buffer
      - .address_space:  global
        .offset:         8
        .size:           8
        .value_kind:     global_buffer
      - .offset:         16
        .size:           8
        .value_kind:     by_value
      - .offset:         24
        .size:           8
        .value_kind:     by_value
      - .offset:         32
        .size:           4
        .value_kind:     hidden_block_count_x
      - .offset:         36
        .size:           4
        .value_kind:     hidden_block_count_y
      - .offset:         40
        .size:           4
        .value_kind:     hidden_block_count_z
      - .offset:         44
        .size:           2
        .value_kind:     hidden_group_size_x
      - .offset:         46
        .size:           2
        .value_kind:     hidden_group_size_y
      - .offset:         48
        .size:           2
        .value_kind:     hidden_group_size_z
      - .offset:         50
        .size:           2
        .value_kind:     hidden_remainder_x
      - .offset:         52
        .size:           2
        .value_kind:     hidden_remainder_y
      - .offset:         54
        .size:           2
        .value_kind:     hidden_remainder_z
      - .offset:         72
        .size:           8
        .value_kind:     hidden_global_offset_x
      - .offset:         80
        .size:           8
        .value_kind:     hidden_global_offset_y
      - .offset:         88
        .size:           8
        .value_kind:     hidden_global_offset_z
      - .offset:         96
        .size:           2
        .value_kind:     hidden_grid_dims
    .group_segment_fixed_size: 0
    .kernarg_segment_align: 8
    .kernarg_segment_size: 288
    .language:       OpenCL C
    .language_version:
      - 2
      - 0
    .max_flat_workgroup_size: 1024
    .name:           _ZN9rocsolver6v33100L9get_arrayI19rocblas_complex_numIfElEEvPPT_S5_lT0_
    .private_segment_fixed_size: 0
    .sgpr_count:     18
    .sgpr_spill_count: 0
    .symbol:         _ZN9rocsolver6v33100L9get_arrayI19rocblas_complex_numIfElEEvPPT_S5_lT0_.kd
    .uniform_work_group_size: 1
    .uses_dynamic_stack: false
    .vgpr_count:     10
    .vgpr_spill_count: 0
    .wavefront_size: 64
  - .agpr_count:     0
    .args:
      - .address_space:  global
        .offset:         0
        .size:           8
        .value_kind:     global_buffer
      - .offset:         8
        .size:           8
        .value_kind:     by_value
      - .offset:         16
        .size:           8
        .value_kind:     by_value
      - .address_space:  global
        .offset:         24
        .size:           8
        .value_kind:     global_buffer
      - .offset:         32
        .size:           8
        .value_kind:     by_value
      - .offset:         40
        .size:           8
        .value_kind:     by_value
      - .offset:         48
        .size:           8
        .value_kind:     by_value
      - .offset:         56
        .size:           8
        .value_kind:     by_value
      - .offset:         64
        .size:           4
        .value_kind:     hidden_block_count_x
      - .offset:         68
        .size:           4
        .value_kind:     hidden_block_count_y
      - .offset:         72
        .size:           4
        .value_kind:     hidden_block_count_z
      - .offset:         76
        .size:           2
        .value_kind:     hidden_group_size_x
      - .offset:         78
        .size:           2
        .value_kind:     hidden_group_size_y
      - .offset:         80
        .size:           2
        .value_kind:     hidden_group_size_z
      - .offset:         82
        .size:           2
        .value_kind:     hidden_remainder_x
      - .offset:         84
        .size:           2
        .value_kind:     hidden_remainder_y
      - .offset:         86
        .size:           2
        .value_kind:     hidden_remainder_z
      - .offset:         104
        .size:           8
        .value_kind:     hidden_global_offset_x
      - .offset:         112
        .size:           8
        .value_kind:     hidden_global_offset_y
      - .offset:         120
        .size:           8
        .value_kind:     hidden_global_offset_z
      - .offset:         128
        .size:           2
        .value_kind:     hidden_grid_dims
    .group_segment_fixed_size: 0
    .kernarg_segment_align: 8
    .kernarg_segment_size: 320
    .language:       OpenCL C
    .language_version:
      - 2
      - 0
    .max_flat_workgroup_size: 1024
    .name:           _ZN9rocsolver6v33100L12restore_diagI19rocblas_complex_numIfElfPKPS3_EEvPT1_llT2_lT0_lSA_
    .private_segment_fixed_size: 0
    .sgpr_count:     22
    .sgpr_spill_count: 0
    .symbol:         _ZN9rocsolver6v33100L12restore_diagI19rocblas_complex_numIfElfPKPS3_EEvPT1_llT2_lT0_lSA_.kd
    .uniform_work_group_size: 1
    .uses_dynamic_stack: false
    .vgpr_count:     8
    .vgpr_spill_count: 0
    .wavefront_size: 64
  - .agpr_count:     0
    .args:
      - .offset:         0
        .size:           8
        .value_kind:     by_value
      - .offset:         8
        .size:           8
        .value_kind:     by_value
      - .address_space:  global
        .offset:         16
        .size:           8
        .value_kind:     global_buffer
      - .offset:         24
        .size:           8
        .value_kind:     by_value
      - .offset:         32
        .size:           8
        .value_kind:     by_value
      - .offset:         40
        .size:           8
        .value_kind:     by_value
      - .address_space:  global
        .offset:         48
        .size:           8
        .value_kind:     global_buffer
      - .offset:         56
        .size:           8
        .value_kind:     by_value
      - .address_space:  global
        .offset:         64
        .size:           8
        .value_kind:     global_buffer
      - .offset:         72
        .size:           8
        .value_kind:     by_value
    .group_segment_fixed_size: 0
    .kernarg_segment_align: 8
    .kernarg_segment_size: 80
    .language:       OpenCL C
    .language_version:
      - 2
      - 0
    .max_flat_workgroup_size: 256
    .name:           _ZN9rocsolver6v33100L18geqr2_kernel_smallILi256E19rocblas_complex_numIdEldPKPS3_EEvT1_S7_T3_lS7_lPT2_lPT0_l
    .private_segment_fixed_size: 0
    .sgpr_count:     64
    .sgpr_spill_count: 0
    .symbol:         _ZN9rocsolver6v33100L18geqr2_kernel_smallILi256E19rocblas_complex_numIdEldPKPS3_EEvT1_S7_T3_lS7_lPT2_lPT0_l.kd
    .uniform_work_group_size: 1
    .uses_dynamic_stack: false
    .vgpr_count:     44
    .vgpr_spill_count: 0
    .wavefront_size: 64
  - .agpr_count:     0
    .args:
      - .address_space:  global
        .offset:         0
        .size:           8
        .value_kind:     global_buffer
      - .offset:         8
        .size:           8
        .value_kind:     by_value
      - .offset:         16
        .size:           8
        .value_kind:     by_value
      - .address_space:  global
        .offset:         24
        .size:           8
        .value_kind:     global_buffer
      - .offset:         32
        .size:           8
        .value_kind:     by_value
      - .offset:         40
        .size:           8
        .value_kind:     by_value
      - .offset:         48
        .size:           8
        .value_kind:     by_value
      - .offset:         56
        .size:           8
        .value_kind:     by_value
      - .offset:         64
        .size:           1
        .value_kind:     by_value
      - .offset:         72
        .size:           4
        .value_kind:     hidden_block_count_x
      - .offset:         76
        .size:           4
        .value_kind:     hidden_block_count_y
      - .offset:         80
        .size:           4
        .value_kind:     hidden_block_count_z
      - .offset:         84
        .size:           2
        .value_kind:     hidden_group_size_x
      - .offset:         86
        .size:           2
        .value_kind:     hidden_group_size_y
      - .offset:         88
        .size:           2
        .value_kind:     hidden_group_size_z
      - .offset:         90
        .size:           2
        .value_kind:     hidden_remainder_x
      - .offset:         92
        .size:           2
        .value_kind:     hidden_remainder_y
      - .offset:         94
        .size:           2
        .value_kind:     hidden_remainder_z
      - .offset:         112
        .size:           8
        .value_kind:     hidden_global_offset_x
      - .offset:         120
        .size:           8
        .value_kind:     hidden_global_offset_y
      - .offset:         128
        .size:           8
        .value_kind:     hidden_global_offset_z
      - .offset:         136
        .size:           2
        .value_kind:     hidden_grid_dims
    .group_segment_fixed_size: 0
    .kernarg_segment_align: 8
    .kernarg_segment_size: 328
    .language:       OpenCL C
    .language_version:
      - 2
      - 0
    .max_flat_workgroup_size: 1024
    .name:           _ZN9rocsolver6v33100L8set_diagI19rocblas_complex_numIdEldPKPS3_TnNSt9enable_ifIXaa18rocblas_is_complexIT_Ent18rocblas_is_complexIT1_EEiE4typeELi0EEEvPS9_llT2_lT0_lSE_b
    .private_segment_fixed_size: 0
    .sgpr_count:     24
    .sgpr_spill_count: 0
    .symbol:         _ZN9rocsolver6v33100L8set_diagI19rocblas_complex_numIdEldPKPS3_TnNSt9enable_ifIXaa18rocblas_is_complexIT_Ent18rocblas_is_complexIT1_EEiE4typeELi0EEEvPS9_llT2_lT0_lSE_b.kd
    .uniform_work_group_size: 1
    .uses_dynamic_stack: false
    .vgpr_count:     6
    .vgpr_spill_count: 0
    .wavefront_size: 64
  - .agpr_count:     0
    .args:
      - .address_space:  global
        .offset:         0
        .size:           8
        .value_kind:     global_buffer
      - .offset:         8
        .size:           8
        .value_kind:     by_value
      - .address_space:  global
        .offset:         16
        .size:           8
        .value_kind:     global_buffer
      - .address_space:  global
        .offset:         24
        .size:           8
        .value_kind:     global_buffer
      - .offset:         32
        .size:           8
        .value_kind:     by_value
      - .offset:         40
        .size:           8
        .value_kind:     by_value
      - .address_space:  global
        .offset:         48
        .size:           8
        .value_kind:     global_buffer
      - .offset:         56
        .size:           8
        .value_kind:     by_value
      - .offset:         64
        .size:           8
        .value_kind:     by_value
    .group_segment_fixed_size: 0
    .kernarg_segment_align: 8
    .kernarg_segment_size: 72
    .language:       OpenCL C
    .language_version:
      - 2
      - 0
    .max_flat_workgroup_size: 1024
    .name:           _ZN9rocsolver6v33100L11set_taubetaI19rocblas_complex_numIdEldPKPS3_EEvPT_lS8_T2_llPT1_ll
    .private_segment_fixed_size: 0
    .sgpr_count:     28
    .sgpr_spill_count: 0
    .symbol:         _ZN9rocsolver6v33100L11set_taubetaI19rocblas_complex_numIdEldPKPS3_EEvPT_lS8_T2_llPT1_ll.kd
    .uniform_work_group_size: 1
    .uses_dynamic_stack: false
    .vgpr_count:     41
    .vgpr_spill_count: 0
    .wavefront_size: 64
  - .agpr_count:     0
    .args:
      - .offset:         0
        .size:           8
        .value_kind:     by_value
      - .offset:         8
        .size:           8
        .value_kind:     by_value
      - .address_space:  global
        .offset:         16
        .size:           8
        .value_kind:     global_buffer
      - .offset:         24
        .size:           8
        .value_kind:     by_value
      - .offset:         32
        .size:           8
        .value_kind:     by_value
      - .offset:         40
        .size:           8
        .value_kind:     by_value
      - .offset:         48
        .size:           4
        .value_kind:     hidden_block_count_x
      - .offset:         52
        .size:           4
        .value_kind:     hidden_block_count_y
      - .offset:         56
        .size:           4
        .value_kind:     hidden_block_count_z
      - .offset:         60
        .size:           2
        .value_kind:     hidden_group_size_x
      - .offset:         62
        .size:           2
        .value_kind:     hidden_group_size_y
      - .offset:         64
        .size:           2
        .value_kind:     hidden_group_size_z
      - .offset:         66
        .size:           2
        .value_kind:     hidden_remainder_x
      - .offset:         68
        .size:           2
        .value_kind:     hidden_remainder_y
      - .offset:         70
        .size:           2
        .value_kind:     hidden_remainder_z
      - .offset:         88
        .size:           8
        .value_kind:     hidden_global_offset_x
      - .offset:         96
        .size:           8
        .value_kind:     hidden_global_offset_y
      - .offset:         104
        .size:           8
        .value_kind:     hidden_global_offset_z
      - .offset:         112
        .size:           2
        .value_kind:     hidden_grid_dims
    .group_segment_fixed_size: 0
    .kernarg_segment_align: 8
    .kernarg_segment_size: 304
    .language:       OpenCL C
    .language_version:
      - 2
      - 0
    .max_flat_workgroup_size: 1024
    .name:           _ZN9rocsolver6v33100L13conj_in_placeI19rocblas_complex_numIdElPS3_TnNSt9enable_ifIX18rocblas_is_complexIT_EEiE4typeELi0EEEvT0_S9_T1_lS9_l
    .private_segment_fixed_size: 0
    .sgpr_count:     22
    .sgpr_spill_count: 0
    .symbol:         _ZN9rocsolver6v33100L13conj_in_placeI19rocblas_complex_numIdElPS3_TnNSt9enable_ifIX18rocblas_is_complexIT_EEiE4typeELi0EEEvT0_S9_T1_lS9_l.kd
    .uniform_work_group_size: 1
    .uses_dynamic_stack: false
    .vgpr_count:     8
    .vgpr_spill_count: 0
    .wavefront_size: 64
  - .agpr_count:     0
    .args:
      - .offset:         0
        .size:           8
        .value_kind:     by_value
      - .offset:         8
        .size:           8
        .value_kind:     by_value
      - .address_space:  global
        .offset:         16
        .size:           8
        .value_kind:     global_buffer
      - .offset:         24
        .size:           8
        .value_kind:     by_value
      - .offset:         32
        .size:           8
        .value_kind:     by_value
      - .offset:         40
        .size:           8
        .value_kind:     by_value
      - .address_space:  global
        .offset:         48
        .size:           8
        .value_kind:     global_buffer
      - .offset:         56
        .size:           8
        .value_kind:     by_value
      - .address_space:  global
        .offset:         64
        .size:           8
        .value_kind:     global_buffer
      - .offset:         72
        .size:           8
        .value_kind:     by_value
      - .offset:         80
        .size:           8
        .value_kind:     by_value
      - .offset:         88
        .size:           8
        .value_kind:     by_value
    .group_segment_fixed_size: 0
    .kernarg_segment_align: 8
    .kernarg_segment_size: 96
    .language:       OpenCL C
    .language_version:
      - 2
      - 0
    .max_flat_workgroup_size: 1024
    .name:           _ZN9rocsolver6v33100L16larf_left_kernelILi1024E19rocblas_complex_numIdElPKPS3_EEvT1_S7_T2_lS7_lPKT0_lS8_lS7_l
    .private_segment_fixed_size: 0
    .sgpr_count:     34
    .sgpr_spill_count: 0
    .symbol:         _ZN9rocsolver6v33100L16larf_left_kernelILi1024E19rocblas_complex_numIdElPKPS3_EEvT1_S7_T2_lS7_lPKT0_lS8_lS7_l.kd
    .uniform_work_group_size: 1
    .uses_dynamic_stack: false
    .vgpr_count:     23
    .vgpr_spill_count: 0
    .wavefront_size: 64
  - .agpr_count:     0
    .args:
      - .offset:         0
        .size:           8
        .value_kind:     by_value
      - .offset:         8
        .size:           8
        .value_kind:     by_value
      - .address_space:  global
        .offset:         16
        .size:           8
        .value_kind:     global_buffer
      - .offset:         24
        .size:           8
        .value_kind:     by_value
      - .offset:         32
        .size:           8
        .value_kind:     by_value
      - .offset:         40
        .size:           8
        .value_kind:     by_value
      - .address_space:  global
        .offset:         48
        .size:           8
        .value_kind:     global_buffer
      - .offset:         56
        .size:           8
        .value_kind:     by_value
      - .address_space:  global
        .offset:         64
        .size:           8
        .value_kind:     global_buffer
      - .offset:         72
        .size:           8
        .value_kind:     by_value
      - .offset:         80
        .size:           8
        .value_kind:     by_value
      - .offset:         88
        .size:           8
        .value_kind:     by_value
    .group_segment_fixed_size: 0
    .kernarg_segment_align: 8
    .kernarg_segment_size: 96
    .language:       OpenCL C
    .language_version:
      - 2
      - 0
    .max_flat_workgroup_size: 1024
    .name:           _ZN9rocsolver6v33100L17larf_right_kernelILi1024E19rocblas_complex_numIdElPKPS3_EEvT1_S7_T2_lS7_lPKT0_lS8_lS7_l
    .private_segment_fixed_size: 0
    .sgpr_count:     34
    .sgpr_spill_count: 0
    .symbol:         _ZN9rocsolver6v33100L17larf_right_kernelILi1024E19rocblas_complex_numIdElPKPS3_EEvT1_S7_T2_lS7_lPKT0_lS8_lS7_l.kd
    .uniform_work_group_size: 1
    .uses_dynamic_stack: false
    .vgpr_count:     24
    .vgpr_spill_count: 0
    .wavefront_size: 64
  - .agpr_count:     0
    .args:
      - .address_space:  global
        .offset:         0
        .size:           8
        .value_kind:     global_buffer
      - .address_space:  global
        .offset:         8
        .size:           8
        .value_kind:     global_buffer
      - .offset:         16
        .size:           8
        .value_kind:     by_value
      - .offset:         24
        .size:           8
        .value_kind:     by_value
      - .offset:         32
        .size:           4
        .value_kind:     hidden_block_count_x
      - .offset:         36
        .size:           4
        .value_kind:     hidden_block_count_y
      - .offset:         40
        .size:           4
        .value_kind:     hidden_block_count_z
      - .offset:         44
        .size:           2
        .value_kind:     hidden_group_size_x
      - .offset:         46
        .size:           2
        .value_kind:     hidden_group_size_y
      - .offset:         48
        .size:           2
        .value_kind:     hidden_group_size_z
      - .offset:         50
        .size:           2
        .value_kind:     hidden_remainder_x
      - .offset:         52
        .size:           2
        .value_kind:     hidden_remainder_y
      - .offset:         54
        .size:           2
        .value_kind:     hidden_remainder_z
      - .offset:         72
        .size:           8
        .value_kind:     hidden_global_offset_x
      - .offset:         80
        .size:           8
        .value_kind:     hidden_global_offset_y
      - .offset:         88
        .size:           8
        .value_kind:     hidden_global_offset_z
      - .offset:         96
        .size:           2
        .value_kind:     hidden_grid_dims
    .group_segment_fixed_size: 0
    .kernarg_segment_align: 8
    .kernarg_segment_size: 288
    .language:       OpenCL C
    .language_version:
      - 2
      - 0
    .max_flat_workgroup_size: 1024
    .name:           _ZN9rocsolver6v33100L9get_arrayI19rocblas_complex_numIdElEEvPPT_S5_lT0_
    .private_segment_fixed_size: 0
    .sgpr_count:     18
    .sgpr_spill_count: 0
    .symbol:         _ZN9rocsolver6v33100L9get_arrayI19rocblas_complex_numIdElEEvPPT_S5_lT0_.kd
    .uniform_work_group_size: 1
    .uses_dynamic_stack: false
    .vgpr_count:     10
    .vgpr_spill_count: 0
    .wavefront_size: 64
  - .agpr_count:     0
    .args:
      - .address_space:  global
        .offset:         0
        .size:           8
        .value_kind:     global_buffer
      - .offset:         8
        .size:           8
        .value_kind:     by_value
      - .offset:         16
        .size:           8
        .value_kind:     by_value
      - .address_space:  global
        .offset:         24
        .size:           8
        .value_kind:     global_buffer
      - .offset:         32
        .size:           8
        .value_kind:     by_value
      - .offset:         40
        .size:           8
        .value_kind:     by_value
      - .offset:         48
        .size:           8
        .value_kind:     by_value
      - .offset:         56
        .size:           8
        .value_kind:     by_value
      - .offset:         64
        .size:           4
        .value_kind:     hidden_block_count_x
      - .offset:         68
        .size:           4
        .value_kind:     hidden_block_count_y
      - .offset:         72
        .size:           4
        .value_kind:     hidden_block_count_z
      - .offset:         76
        .size:           2
        .value_kind:     hidden_group_size_x
      - .offset:         78
        .size:           2
        .value_kind:     hidden_group_size_y
      - .offset:         80
        .size:           2
        .value_kind:     hidden_group_size_z
      - .offset:         82
        .size:           2
        .value_kind:     hidden_remainder_x
      - .offset:         84
        .size:           2
        .value_kind:     hidden_remainder_y
      - .offset:         86
        .size:           2
        .value_kind:     hidden_remainder_z
      - .offset:         104
        .size:           8
        .value_kind:     hidden_global_offset_x
      - .offset:         112
        .size:           8
        .value_kind:     hidden_global_offset_y
      - .offset:         120
        .size:           8
        .value_kind:     hidden_global_offset_z
      - .offset:         128
        .size:           2
        .value_kind:     hidden_grid_dims
    .group_segment_fixed_size: 0
    .kernarg_segment_align: 8
    .kernarg_segment_size: 320
    .language:       OpenCL C
    .language_version:
      - 2
      - 0
    .max_flat_workgroup_size: 1024
    .name:           _ZN9rocsolver6v33100L12restore_diagI19rocblas_complex_numIdEldPKPS3_EEvPT1_llT2_lT0_lSA_
    .private_segment_fixed_size: 0
    .sgpr_count:     22
    .sgpr_spill_count: 0
    .symbol:         _ZN9rocsolver6v33100L12restore_diagI19rocblas_complex_numIdEldPKPS3_EEvPT1_llT2_lT0_lSA_.kd
    .uniform_work_group_size: 1
    .uses_dynamic_stack: false
    .vgpr_count:     8
    .vgpr_spill_count: 0
    .wavefront_size: 64
amdhsa.target:   amdgcn-amd-amdhsa--gfx950
amdhsa.version:
  - 1
  - 2
...

	.end_amdgpu_metadata
